;; amdgpu-corpus repo=ROCm/aiter kind=harvested arch=n/a opt=n/a

/root/src/amdgpu-assembly/repos/ROCm__aiter/hsa/gfx950/fmha_v3_bwd/bwd_hd128_fp16_causal_a32_psskddv_group.co:	file format elf64-amdgpu

Disassembly of section .text:

0000000000004000 <_ZN5aiter44fmha_bwd_hd128_fp16_causal_a32_psskddv_groupE>:
	s_and_b32 s1, s1, 0xffff                                   // 000000004000: 8601FF01 0000FFFF
	s_load_dwordx2 s[32:33], s[0:1], 0x0                       // 000000004008: C0060800 00000000
	s_load_dwordx2 s[36:37], s[0:1], 0x10                      // 000000004010: C0060900 00000010
	s_load_dwordx2 s[40:41], s[0:1], 0x20                      // 000000004018: C0060A00 00000020
	s_load_dwordx2 s[8:9], s[0:1], 0x30                        // 000000004020: C0060200 00000030
	s_load_dwordx2 s[12:13], s[0:1], 0x40                      // 000000004028: C0060300 00000040
	s_load_dwordx2 s[16:17], s[0:1], 0x50                      // 000000004030: C0060400 00000050
	s_load_dwordx2 s[20:21], s[0:1], 0x60                      // 000000004038: C0060500 00000060
	s_load_dwordx2 s[24:25], s[0:1], 0x70                      // 000000004040: C0060600 00000070
	s_load_dwordx2 s[28:29], s[0:1], 0x80                      // 000000004048: C0060700 00000080
	s_load_dword s47, s[0:1], 0x90                             // 000000004050: C0020BC0 00000090
	s_load_dword s48, s[0:1], 0xa0                             // 000000004058: C0020C00 000000A0
	s_load_dword s78, s[0:1], 0xd0                             // 000000004060: C0021380 000000D0
	s_load_dword s5, s[0:1], 0xf0                              // 000000004068: C0020140 000000F0
	s_load_dword s44, s[0:1], 0x100                            // 000000004070: C0020B00 00000100
	s_load_dword s80, s[0:1], 0x110                            // 000000004078: C0021400 00000110
	s_load_dword s6, s[0:1], 0x130                             // 000000004080: C0020180 00000130
	s_load_dword s52, s[0:1], 0x140                            // 000000004088: C0020D00 00000140
	s_load_dword s63, s[0:1], 0x160                            // 000000004090: C0020FC0 00000160
	s_load_dword s79, s[0:1], 0x190                            // 000000004098: C00213C0 00000190
	s_load_dword s7, s[0:1], 0x1b0                             // 0000000040A0: C00201C0 000001B0
	s_load_dword s81, s[0:1], 0x1c0                            // 0000000040A8: C0021440 000001C0
	s_load_dword s51, s[0:1], 0x1e0                            // 0000000040B0: C0020CC0 000001E0
	s_load_dword s82, s[0:1], 0x1f0                            // 0000000040B8: C0021480 000001F0
	s_load_dword s83, s[0:1], 0x210                            // 0000000040C0: C00214C0 00000210
	s_load_dword s53, s[0:1], 0x230                            // 0000000040C8: C0020D40 00000230
	s_load_dword s64, s[0:1], 0x240                            // 0000000040D0: C0021000 00000240
	s_load_dwordx2 s[56:57], s[0:1], 0x250                     // 0000000040D8: C0060E00 00000250
	s_load_dwordx2 s[100:101], s[0:1], 0x260                   // 0000000040E0: C0061900 00000260
	s_load_dwordx2 s[68:69], s[0:1], 0x270                     // 0000000040E8: C0061100 00000270
	s_load_dwordx2 s[72:73], s[0:1], 0x280                     // 0000000040F0: C0061200 00000280
	v_lshrrev_b32_e32 v1, 10, v0                               // 0000000040F8: 2002008A
	v_lshrrev_b32_e32 v2, 10, v1                               // 0000000040FC: 2004028A
	v_and_b32_e32 v2, 0x3ff, v2                                // 000000004100: 260404FF 000003FF
	v_and_b32_e32 v1, 0x3ff, v1                                // 000000004108: 260202FF 000003FF
	v_and_b32_e32 v0, 0x3ff, v0                                // 000000004110: 260000FF 000003FF
	v_lshrrev_b32_e32 v3, 6, v0                                // 000000004118: 20060086
	v_and_b32_e32 v0, 63, v0                                   // 00000000411C: 260000BF
	s_mov_b32 s2, s2                                           // 000000004120: BE820002
	s_mov_b32 s3, s3                                           // 000000004124: BE830003
	s_mov_b32 s4, s4                                           // 000000004128: BE840004
	v_readfirstlane_b32 s46, v3                                // 00000000412C: 7E5C0503
	s_waitcnt lgkmcnt(0)                                       // 000000004130: BF8CC07F
	s_mul_i32 s60, s4, 4                                       // 000000004134: 923C8404
	s_add_u32 s56, s60, s56                                    // 000000004138: 8038383C
	s_addc_u32 s57, 0, s57                                     // 00000000413C: 82393980
	s_load_dwordx2 s[84:85], s[56:57], 0x0                     // 000000004140: C006151C 00000000
	s_add_u32 s68, s60, s68                                    // 000000004148: 8044443C
	s_addc_u32 s69, 0, s69                                     // 00000000414C: 82454580
	s_load_dword s88, s[68:69], 0x0                            // 000000004150: C0021622 00000000
	s_add_u32 s100, s60, s100                                  // 000000004158: 8064643C
	s_addc_u32 s101, 0, s101                                   // 00000000415C: 82656580
	s_load_dwordx2 s[86:87], s[100:101], 0x0                   // 000000004160: C00615B2 00000000
	s_add_u32 s72, s60, s72                                    // 000000004168: 8048483C
	s_addc_u32 s73, 0, s73                                     // 00000000416C: 82494980
	s_load_dword s89, s[72:73], 0x0                            // 000000004170: C0021664 00000000
	s_mov_b32 s11, 0x20000                                     // 000000004178: BE8B00FF 00020000
	s_mov_b32 s15, 0x20000                                     // 000000004180: BE8F00FF 00020000
	s_mov_b32 s19, 0x20000                                     // 000000004188: BE9300FF 00020000
	s_mov_b32 s23, 0x20000                                     // 000000004190: BE9700FF 00020000
	s_mov_b32 s27, 0x20000                                     // 000000004198: BE9B00FF 00020000
	s_mov_b32 s31, 0x20000                                     // 0000000041A0: BE9F00FF 00020000
	s_mov_b32 s35, 0x20000                                     // 0000000041A8: BEA300FF 00020000
	s_mov_b32 s39, 0x20000                                     // 0000000041B0: BEA700FF 00020000
	s_mov_b32 s43, 0x20000                                     // 0000000041B8: BEAB00FF 00020000
	s_and_b32 s9, s9, 0xffff                                   // 0000000041C0: 8609FF09 0000FFFF
	s_and_b32 s13, s13, 0xffff                                 // 0000000041C8: 860DFF0D 0000FFFF
	s_and_b32 s17, s17, 0xffff                                 // 0000000041D0: 8611FF11 0000FFFF
	s_and_b32 s21, s21, 0xffff                                 // 0000000041D8: 8615FF15 0000FFFF
	s_and_b32 s25, s25, 0xffff                                 // 0000000041E0: 8619FF19 0000FFFF
	s_and_b32 s29, s29, 0xffff                                 // 0000000041E8: 861DFF1D 0000FFFF
	s_and_b32 s33, s33, 0xffff                                 // 0000000041F0: 8621FF21 0000FFFF
	s_and_b32 s37, s37, 0xffff                                 // 0000000041F8: 8625FF25 0000FFFF
	s_and_b32 s41, s41, 0xffff                                 // 000000004200: 8629FF29 0000FFFF
	s_or_b32 s9, s9, 0x40000                                   // 000000004208: 8709FF09 00040000
	s_or_b32 s13, s13, 0x40000                                 // 000000004210: 870DFF0D 00040000
	s_or_b32 s17, s17, 0x40000                                 // 000000004218: 8711FF11 00040000
	s_or_b32 s21, s21, 0x40000                                 // 000000004220: 8715FF15 00040000
	s_or_b32 s25, s25, 0x40000                                 // 000000004228: 8719FF19 00040000
	s_or_b32 s29, s29, 0x40000                                 // 000000004230: 871DFF1D 00040000
	s_or_b32 s33, s33, 0x40000                                 // 000000004238: 8721FF21 00040000
	s_or_b32 s37, s37, 0x40000                                 // 000000004240: 8725FF25 00040000
	s_or_b32 s41, s41, 0x40000                                 // 000000004248: 8729FF29 00040000
	s_waitcnt lgkmcnt(0)                                       // 000000004250: BF8CC07F
	s_mul_i32 s61, s2, 0x200                                   // 000000004254: 923DFF02 00000200
	s_sub_i32 s50, s87, s86                                    // 00000000425C: 81B25657
	s_mov_b32 s86, s89                                         // 000000004260: BED60059
	s_sub_i32 s49, s85, s84                                    // 000000004264: 81B15455
	s_mov_b32 s84, s88                                         // 000000004268: BED40058
	s_cmp_eq_i32 s49, 0                                        // 00000000426C: BF008031
	s_cbranch_scc1 label_2445                                  // 000000004270: BF852380
	s_cmp_ge_i32 s61, s50                                      // 000000004274: BF03323D
	s_cbranch_scc1 label_2445                                  // 000000004278: BF85237E
	v_accvgpr_write_b32 a255, 0                                // 00000000427C: D3D940FF 18000080
	v_mov_b32_e32 v255, 0                                      // 000000004284: 7FFE0280
	s_mov_b32 s71, s3                                          // 000000004288: BEC70003
	v_cvt_f32_u32_e32 v20, s44                                 // 00000000428C: 7E280C2C
	s_sub_i32 s60, 0, s44                                      // 000000004290: 81BC2C80
	v_rcp_iflag_f32_e32 v20, v20                               // 000000004294: 7E284714
	s_nop 0                                                    // 000000004298: BF800000
	v_mul_f32_e32 v20, 0x4f7ffffe, v20                         // 00000000429C: 0A2828FF 4F7FFFFE
	v_cvt_u32_f32_e32 v20, v20                                 // 0000000042A4: 7E280F14
	v_mul_lo_u32 v21, s60, v20                                 // 0000000042A8: D2850015 0002283C
	v_mul_hi_u32 v21, v20, v21                                 // 0000000042B0: D2860015 00022B14
	v_add_u32_e32 v20, v20, v21                                // 0000000042B8: 68282B14
	v_mul_hi_u32 v20, s71, v20                                 // 0000000042BC: D2860014 00022847
	v_mul_lo_u32 v21, v20, s44                                 // 0000000042C4: D2850015 00005914
	v_sub_u32_e32 v23, s71, v21                                // 0000000042CC: 6A2E2A47
	v_add_u32_e32 v22, 1, v20                                  // 0000000042D0: 682C2881
	v_cmp_le_u32_e32 vcc, s44, v23                             // 0000000042D4: 7D962E2C
	v_subrev_u32_e32 v21, s44, v23                             // 0000000042D8: 6C2A2E2C
	s_nop 0                                                    // 0000000042DC: BF800000
	v_cndmask_b32_e32 v20, v20, v22, vcc                       // 0000000042E0: 00282D14
	v_cndmask_b32_e32 v23, v23, v21, vcc                       // 0000000042E4: 002E2B17
	v_add_u32_e32 v21, 1, v20                                  // 0000000042E8: 682A2881
	v_cmp_le_u32_e32 vcc, s44, v23                             // 0000000042EC: 7D962E2C
	s_nop 1                                                    // 0000000042F0: BF800001
	v_cndmask_b32_e32 v23, v20, v21, vcc                       // 0000000042F4: 002E2B14
	s_nop 3                                                    // 0000000042F8: BF800003
	v_readfirstlane_b32 s45, v23                               // 0000000042FC: 7E5A0517
	s_nop 3                                                    // 000000004300: BF800003
	s_mul_i32 s61, s45, s80                                    // 000000004304: 923D502D
	s_mov_b32 s54, s61                                         // 000000004308: BEB6003D
	s_add_u32 s12, s54, s12                                    // 00000000430C: 800C0C36
	s_addc_u32 s13, 0, s13                                     // 000000004310: 820D0D80
	s_mul_i32 s60, s86, s6                                     // 000000004314: 923C0656
	s_mul_hi_u32 s61, s86, s6                                  // 000000004318: 963D0656
	s_and_b32 s61, s61, 0xffff                                 // 00000000431C: 863DFF3D 0000FFFF
	s_add_u32 s12, s12, s60                                    // 000000004324: 800C3C0C
	s_addc_u32 s13, s13, s61                                   // 000000004328: 820D3D0D
	s_mul_i32 s61, s45, s79                                    // 00000000432C: 923D4F2D
	s_mov_b32 s54, s61                                         // 000000004330: BEB6003D
	s_add_u32 s16, s54, s16                                    // 000000004334: 80101036
	s_addc_u32 s17, 0, s17                                     // 000000004338: 82111180
	s_mul_i32 s60, s86, s7                                     // 00000000433C: 923C0756
	s_mul_hi_u32 s61, s86, s7                                  // 000000004340: 963D0756
	s_and_b32 s61, s61, 0xffff                                 // 000000004344: 863DFF3D 0000FFFF
	s_add_u32 s16, s16, s60                                    // 00000000434C: 80103C10
	s_addc_u32 s17, s17, s61                                   // 000000004350: 82113D11
	s_mul_i32 s61, s3, s78                                     // 000000004354: 923D4E03
	s_mul_i32 s62, s84, s5                                     // 000000004358: 923E0554
	s_mov_b32 s55, s61                                         // 00000000435C: BEB7003D
	s_add_u32 s8, s55, s8                                      // 000000004360: 80080837
	s_addc_u32 s9, 0, s9                                       // 000000004364: 82090980
	s_mul_i32 s60, s5, s49                                     // 000000004368: 923C3105
	s_sub_i32 s61, s60, s61                                    // 00000000436C: 81BD3D3C
	s_cmp_ge_i32 s5, s78                                       // 000000004370: BF034E05
	s_cselect_b32 s60, s61, s60                                // 000000004374: 853C3C3D
	s_lshr_b32 s60, s60, 2                                     // 000000004378: 8F3C823C
	s_mov_b32 s10, s60                                         // 00000000437C: BE8A003C
	s_mul_i32 s60, s84, s5                                     // 000000004380: 923C0554
	s_mul_hi_u32 s61, s84, s5                                  // 000000004384: 963D0554
	s_and_b32 s61, s61, 0xffff                                 // 000000004388: 863DFF3D 0000FFFF
	s_add_u32 s8, s8, s60                                      // 000000004390: 80083C08
	s_addc_u32 s9, s9, s61                                     // 000000004394: 82093D09
	s_mul_i32 s61, s3, s81                                     // 000000004398: 923D5103
	s_mul_i32 s62, s84, s51                                    // 00000000439C: 923E3354
	s_mov_b32 s56, s61                                         // 0000000043A0: BEB8003D
	s_add_u32 s20, s56, s20                                    // 0000000043A4: 80141438
	s_addc_u32 s21, 0, s21                                     // 0000000043A8: 82151580
	s_mul_i32 s60, s51, s49                                    // 0000000043AC: 923C3133
	s_sub_i32 s61, s60, s61                                    // 0000000043B0: 81BD3D3C
	s_cmp_ge_i32 s51, s81                                      // 0000000043B4: BF035133
	s_cselect_b32 s60, s61, s60                                // 0000000043B8: 853C3C3D
	s_lshr_b32 s60, s60, 2                                     // 0000000043BC: 8F3C823C
	s_mov_b32 s22, s60                                         // 0000000043C0: BE96003C
	s_mul_i32 s60, s84, s51                                    // 0000000043C4: 923C3354
	s_mul_hi_u32 s61, s84, s51                                 // 0000000043C8: 963D3354
	s_and_b32 s61, s61, 0xffff                                 // 0000000043CC: 863DFF3D 0000FFFF
	s_add_u32 s20, s20, s60                                    // 0000000043D4: 80143C14
	s_addc_u32 s21, s21, s61                                   // 0000000043D8: 82153D15
	s_mul_i32 s62, 4, s84                                      // 0000000043DC: 923E5484
	s_mov_b32 s65, 0                                           // 0000000043E0: BEC10080
	s_mul_i32 s61, s3, s64                                     // 0000000043E4: 923D4003
	s_mov_b32 s26, s49                                         // 0000000043E8: BE9A0031
	s_mov_b32 s30, s49                                         // 0000000043EC: BE9E0031
	s_and_b32 s65, s65, 0xffff                                 // 0000000043F0: 8641FF41 0000FFFF
	s_add_u32 s24, s61, s24                                    // 0000000043F8: 8018183D
	s_addc_u32 s25, 0, s25                                     // 0000000043FC: 82191980
	s_add_u32 s24, s24, s62                                    // 000000004400: 80183E18
	s_addc_u32 s25, s25, s65                                   // 000000004404: 82194119
	s_add_u32 s28, s61, s28                                    // 000000004408: 801C1C3D
	s_addc_u32 s29, 0, s29                                     // 00000000440C: 821D1D80
	s_add_u32 s28, s28, s62                                    // 000000004410: 801C3E1C
	s_addc_u32 s29, s29, s65                                   // 000000004414: 821D411D
	s_add_u32 s65, s61, s62                                    // 000000004418: 80413E3D
	s_mul_i32 s61, s3, s82                                     // 00000000441C: 923D5203
	s_add_u32 s36, s61, s36                                    // 000000004420: 8024243D
	s_addc_u32 s37, 0, s37                                     // 000000004424: 82252580
	s_mul_i32 s60, s50, s52                                    // 000000004428: 923C3432
	s_lshr_b32 s60, s60, 2                                     // 00000000442C: 8F3C823C
	s_mov_b32 s38, s60                                         // 000000004430: BEA6003C
	s_mul_i32 s60, s86, s52                                    // 000000004434: 923C3456
	s_mul_hi_u32 s61, s86, s52                                 // 000000004438: 963D3456
	s_and_b32 s61, s61, 0xffff                                 // 00000000443C: 863DFF3D 0000FFFF
	s_add_u32 s36, s36, s60                                    // 000000004444: 80243C24
	s_addc_u32 s37, s37, s61                                   // 000000004448: 82253D25
	s_mul_i32 s61, s3, s83                                     // 00000000444C: 923D5303
	s_add_u32 s40, s61, s40                                    // 000000004450: 8028283D
	s_addc_u32 s41, 0, s41                                     // 000000004454: 82292980
	s_mul_i32 s60, s50, s53                                    // 000000004458: 923C3532
	s_lshr_b32 s60, s60, 2                                     // 00000000445C: 8F3C823C
	s_mov_b32 s42, s60                                         // 000000004460: BEAA003C
	s_mul_i32 s60, s86, s53                                    // 000000004464: 923C3556
	s_mul_hi_u32 s61, s86, s53                                 // 000000004468: 963D3556
	s_and_b32 s61, s61, 0xffff                                 // 00000000446C: 863DFF3D 0000FFFF
	s_add_u32 s40, s40, s60                                    // 000000004474: 80283C28
	s_addc_u32 s41, s41, s61                                   // 000000004478: 82293D29
	s_mul_i32 s60, s63, s65                                    // 00000000447C: 923C413F
	s_mul_hi_u32 s61, s63, s65                                 // 000000004480: 963D413F
	s_and_b32 s61, s61, 0xffff                                 // 000000004484: 863DFF3D 0000FFFF
	s_add_u32 s32, s60, s32                                    // 00000000448C: 8020203C
	s_addc_u32 s33, s61, s33                                   // 000000004490: 8221213D
	s_mul_i32 s60, s63, s49                                    // 000000004494: 923C313F
	s_lshl_b32 s60, s60, 2                                     // 000000004498: 8E3C823C
	s_mov_b32 s34, s60                                         // 00000000449C: BEA2003C
	s_mov_b32 s90, s8                                          // 0000000044A0: BEDA0008
	s_mov_b32 s92, s12                                         // 0000000044A4: BEDC000C
	s_mov_b32 s94, s16                                         // 0000000044A8: BEDE0010
	s_mov_b32 s96, s20                                         // 0000000044AC: BEE00014
	s_mov_b32 s91, s9                                          // 0000000044B0: BEDB0009
	s_mov_b32 s93, s13                                         // 0000000044B4: BEDD000D
	s_mov_b32 s95, s17                                         // 0000000044B8: BEDF0011
	s_mov_b32 s97, s21                                         // 0000000044BC: BEE10015
	s_add_u32 s71, 0xff, s50                                   // 0000000044C0: 804732FF 000000FF
	s_mov_b32 s74, 0x100                                       // 0000000044C8: BECA00FF 00000100
	v_cvt_f32_u32_e32 v20, s74                                 // 0000000044D0: 7E280C4A
	s_sub_i32 s60, 0, s74                                      // 0000000044D4: 81BC4A80
	v_rcp_iflag_f32_e32 v20, v20                               // 0000000044D8: 7E284714
	s_nop 0                                                    // 0000000044DC: BF800000
	v_mul_f32_e32 v20, 0x4f7ffffe, v20                         // 0000000044E0: 0A2828FF 4F7FFFFE
	v_cvt_u32_f32_e32 v20, v20                                 // 0000000044E8: 7E280F14
	v_mul_lo_u32 v21, s60, v20                                 // 0000000044EC: D2850015 0002283C
	v_mul_hi_u32 v21, v20, v21                                 // 0000000044F4: D2860015 00022B14
	v_add_u32_e32 v20, v20, v21                                // 0000000044FC: 68282B14
	v_mul_hi_u32 v20, s71, v20                                 // 000000004500: D2860014 00022847
	v_mul_lo_u32 v21, v20, s74                                 // 000000004508: D2850015 00009514
	v_sub_u32_e32 v23, s71, v21                                // 000000004510: 6A2E2A47
	v_add_u32_e32 v22, 1, v20                                  // 000000004514: 682C2881
	v_cmp_le_u32_e32 vcc, s74, v23                             // 000000004518: 7D962E4A
	v_subrev_u32_e32 v21, s74, v23                             // 00000000451C: 6C2A2E4A
	s_nop 0                                                    // 000000004520: BF800000
	v_cndmask_b32_e32 v20, v20, v22, vcc                       // 000000004524: 00282D14
	v_cndmask_b32_e32 v23, v23, v21, vcc                       // 000000004528: 002E2B17
	v_add_u32_e32 v21, 1, v20                                  // 00000000452C: 682A2881
	v_cmp_le_u32_e32 vcc, s74, v23                             // 000000004530: 7D962E4A
	s_nop 1                                                    // 000000004534: BF800001
	v_cndmask_b32_e32 v23, v20, v21, vcc                       // 000000004538: 002E2B14
	s_nop 3                                                    // 00000000453C: BF800003
	v_readfirstlane_b32 s77, v23                               // 000000004540: 7E9A0517
	s_nop 3                                                    // 000000004544: BF800003
	v_mov_b32_e32 v20, s47                                     // 000000004548: 7E28022F
	v_mul_f32_e32 v20, s48, v20                                // 00000000454C: 0A282830
	s_mov_b32 s58, s49                                         // 000000004550: BEBA0031
	s_mov_b32 s59, 0                                           // 000000004554: BEBB0080
	v_readfirstlane_b32 s57, v20                               // 000000004558: 7E720514
	s_mul_i32 s60, s63, 64                                     // 00000000455C: 923CC03F
	s_mov_b32 s67, s60                                         // 000000004560: BEC3003C
	s_cmp_lt_u32 s46, 2                                        // 000000004564: BF0A822E
	s_cselect_b32 s24, s24, s28                                // 000000004568: 85181C18
	s_cselect_b32 s25, s25, s29                                // 00000000456C: 85191D19
	s_cselect_b32 s26, s26, s30                                // 000000004570: 851A1E1A
	s_cselect_b32 s27, s27, s31                                // 000000004574: 851B1F1B
	s_mov_b32 s75, 0                                           // 000000004578: BECB0080
	s_mov_b32 s76, 1                                           // 00000000457C: BECC0081
	s_lshl_b32 s60, s2, 1                                      // 000000004580: 8E3C8102
	s_add_u32 s60, 1, s60                                      // 000000004584: 803C3C81
	s_cmp_ge_i32 s60, s77                                      // 000000004588: BF034D3C
	s_cselect_b32 s76, s76, 2                                  // 00000000458C: 854C824C

0000000000004590 <label_0164>:
	s_mov_b32 s66, 0                                           // 000000004590: BEC20080
	v_mov_b32_e32 v125, 0xff800000                             // 000000004594: 7EFA02FF FF800000
	s_mov_b32 s74, 0                                           // 00000000459C: BECA0080
	s_mul_i32 s68, 4, s5                                       // 0000000045A0: 92440584
	s_mul_i32 s98, 4, s51                                      // 0000000045A4: 92623384
	s_mov_b32 s69, 16                                          // 0000000045A8: BEC50090
	s_mul_i32 s59, 0x100, s2                                   // 0000000045AC: 923B02FF 00000100
	s_mul_i32 s54, s6, s59                                     // 0000000045B4: 92363B06
	s_sub_i32 s61, s50, s59                                    // 0000000045B8: 81BD3B32
	s_mul_i32 s62, s6, s61                                     // 0000000045BC: 923E3D06
	s_lshr_b32 s62, s62, 2                                     // 0000000045C0: 8F3E823E
	s_mov_b32 s14, s62                                         // 0000000045C4: BE8E003E
	s_add_u32 s12, s54, s92                                    // 0000000045C8: 800C5C36
	s_addc_u32 s13, 0, s93                                     // 0000000045CC: 820D5D80
	s_mul_i32 s54, s7, s59                                     // 0000000045D0: 92363B07
	s_mul_i32 s62, s7, s61                                     // 0000000045D4: 923E3D07
	s_lshr_b32 s62, s62, 2                                     // 0000000045D8: 8F3E823E
	s_mov_b32 s18, s62                                         // 0000000045DC: BE92003E
	s_add_u32 s16, s54, s94                                    // 0000000045E0: 80105E36
	s_addc_u32 s17, 0, s95                                     // 0000000045E4: 82115F80
	s_mov_b32 s71, s6                                          // 0000000045E8: BEC70006
	v_and_b32_e32 v20, 3, v0                                   // 0000000045EC: 26280083
	v_and_b32_e32 v21, 1, v20                                  // 0000000045F0: 262A2881
	v_lshrrev_b32_e32 v22, 1, v20                              // 0000000045F4: 202C2881
	v_lshrrev_b32_e32 v20, 5, v0                               // 0000000045F8: 20280085
	v_xor_b32_e32 v22, v22, v20                                // 0000000045FC: 2A2C2916
	v_lshlrev_b32_e32 v22, 1, v22                              // 000000004600: 242C2C81
	v_add_u32_e32 v21, v22, v21                                // 000000004604: 682A2B16
	v_lshlrev_b32_e32 v21, 4, v21                              // 000000004608: 242A2A84
	v_lshrrev_b32_e32 v20, 2, v0                               // 00000000460C: 20280082
	v_mul_i32_i24_e32 v20, s71, v20                            // 000000004610: 0C282847
	v_add_u32_e32 v1, v20, v21                                 // 000000004614: 68022B14
	s_mul_i32 s60, s46, 64                                     // 000000004618: 923CC02E
	v_add_u32_e32 v1, s60, v1                                  // 00000000461C: 6802023C
	s_mov_b32 s71, s7                                          // 000000004620: BEC70007
	v_and_b32_e32 v20, 3, v0                                   // 000000004624: 26280083
	v_and_b32_e32 v21, 1, v20                                  // 000000004628: 262A2881
	v_lshrrev_b32_e32 v22, 1, v20                              // 00000000462C: 202C2881
	v_lshrrev_b32_e32 v20, 5, v0                               // 000000004630: 20280085
	v_xor_b32_e32 v22, v22, v20                                // 000000004634: 2A2C2916
	v_lshlrev_b32_e32 v22, 1, v22                              // 000000004638: 242C2C81
	v_add_u32_e32 v21, v22, v21                                // 00000000463C: 682A2B16
	v_lshlrev_b32_e32 v21, 4, v21                              // 000000004640: 242A2A84
	v_lshrrev_b32_e32 v20, 2, v0                               // 000000004644: 20280082
	v_mul_i32_i24_e32 v20, s71, v20                            // 000000004648: 0C282847
	v_add_u32_e32 v254, v20, v21                               // 00000000464C: 69FC2B14
	s_mul_i32 s60, s46, 64                                     // 000000004650: 923CC02E
	v_add_u32_e32 v254, s60, v254                              // 000000004654: 69FDFC3C
	v_lshrrev_b32_e32 v1, 2, v1                                // 000000004658: 20020282
	v_lshrrev_b32_e32 v254, 2, v254                            // 00000000465C: 21FDFC82
	s_mov_b32 s70, s52                                         // 000000004660: BEC60034
	v_lshrrev_b32_e32 v20, 4, v0                               // 000000004664: 20280084
	v_mul_i32_i24_e32 v2, s70, v20                             // 000000004668: 0C042846
	v_lshrrev_b32_e32 v2, 2, v2                                // 00000000466C: 20040482
	v_and_b32_e32 v20, 15, v0                                  // 000000004670: 2628008F
	v_lshlrev_b32_e32 v21, 2, v20                              // 000000004674: 242A2882
	v_add_u32_e32 v2, v21, v2                                  // 000000004678: 68040515
	s_mul_i32 s60, 16, s70                                     // 00000000467C: 923C4690
	s_mul_i32 s60, s46, s60                                    // 000000004680: 923C3C2E
	v_lshlrev_b32_e32 v2, 2, v2                                // 000000004684: 24040482
	v_add_u32_e32 v2, s60, v2                                  // 000000004688: 6804043C
	s_mul_i32 s60, s52, s59                                    // 00000000468C: 923C3B34
	v_add_u32_e32 v2, s60, v2                                  // 000000004690: 6804043C
	v_lshrrev_b32_e32 v2, 2, v2                                // 000000004694: 20040482
	s_mov_b32 s70, s53                                         // 000000004698: BEC60035
	v_lshrrev_b32_e32 v20, 4, v0                               // 00000000469C: 20280084
	v_mul_i32_i24_e32 v3, s70, v20                             // 0000000046A0: 0C062846
	v_lshrrev_b32_e32 v3, 2, v3                                // 0000000046A4: 20060682
	v_and_b32_e32 v20, 15, v0                                  // 0000000046A8: 2628008F
	v_lshlrev_b32_e32 v21, 2, v20                              // 0000000046AC: 242A2882
	v_add_u32_e32 v3, v21, v3                                  // 0000000046B0: 68060715
	s_mul_i32 s60, 16, s70                                     // 0000000046B4: 923C4690
	s_mul_i32 s60, s46, s60                                    // 0000000046B8: 923C3C2E
	v_lshlrev_b32_e32 v3, 2, v3                                // 0000000046BC: 24060682
	v_add_u32_e32 v3, s60, v3                                  // 0000000046C0: 6806063C
	s_mul_i32 s60, s53, s59                                    // 0000000046C4: 923C3B35
	v_add_u32_e32 v3, s60, v3                                  // 0000000046C8: 6806063C
	v_lshrrev_b32_e32 v3, 2, v3                                // 0000000046CC: 20060682
	s_cmp_ge_i32 s59, s49                                      // 0000000046D0: BF03313B
	s_cselect_b32 s59, s49, s59                                // 0000000046D4: 853B3B31
	s_add_u32 s73, 16, s59                                     // 0000000046D8: 80493B90
	s_mul_i32 s65, s59, 4                                      // 0000000046DC: 9241843B
	v_and_b32_e32 v8, 15, v0                                   // 0000000046E0: 2610008F
	v_lshlrev_b32_e32 v8, 2, v8                                // 0000000046E4: 24101082
	v_add_u32_e32 v8, s65, v8                                  // 0000000046E8: 68101041
	v_lshrrev_b32_e32 v8, 2, v8                                // 0000000046EC: 20101082
	v_lshrrev_b32_e32 v20, 4, v0                               // 0000000046F0: 20280084
	v_mul_i32_i24_e64 v21, s63, 4                              // 0000000046F4: D1060015 0001083F
	v_mul_i32_i24_e32 v4, v21, v20                             // 0000000046FC: 0C082915
	v_and_b32_e32 v20, 15, v0                                  // 000000004700: 2628008F
	v_add_u32_e32 v4, v20, v4                                  // 000000004704: 68080914
	s_mul_i32 s60, s46, 32                                     // 000000004708: 923CA02E
	v_add_u32_e32 v4, s60, v4                                  // 00000000470C: 6808083C
	v_lshlrev_b32_e32 v4, 2, v4                                // 000000004710: 24080882
	s_mul_i32 s60, s63, 4                                      // 000000004714: 923C843F
	v_add_u32_e32 v5, s60, v4                                  // 000000004718: 680A083C
	v_add_u32_e32 v6, s60, v5                                  // 00000000471C: 680C0A3C
	v_add_u32_e32 v7, s60, v6                                  // 000000004720: 680E0C3C
	s_mul_i32 s60, s63, s65                                    // 000000004724: 923C413F
	v_add_u32_e32 v4, s60, v4                                  // 000000004728: 6808083C
	v_add_u32_e32 v5, s60, v5                                  // 00000000472C: 680A0A3C
	v_add_u32_e32 v6, s60, v6                                  // 000000004730: 680C0C3C
	v_add_u32_e32 v7, s60, v7                                  // 000000004734: 680E0E3C
	s_mul_i32 s60, 2, s2                                       // 000000004738: 923C0282
	s_add_u32 s61, s50, 0x7f                                   // 00000000473C: 803DFF32 0000007F
	s_lshr_b32 s61, s61, 7                                     // 000000004744: 8F3D873D
	s_sub_i32 s72, s61, s60                                    // 000000004748: 81C83C3D
	s_cmp_lt_i32 s72, 2                                        // 00000000474C: BF048248
	s_cselect_b32 s72, s72, 2                                  // 000000004750: 85488248
	s_mul_i32 s60, 0x100, s2                                   // 000000004754: 923C02FF 00000100
	s_sub_i32 s99, s50, s60                                    // 00000000475C: 81E33C32
	s_lshr_b32 s60, s46, 1                                     // 000000004760: 8F3C812E
	s_lshl_b32 s60, s60, 8                                     // 000000004764: 8E3C883C
	s_add_u32 s78, 0xa400, s60                                 // 000000004768: 804E3CFF 0000A400
	s_add_u32 s79, 0x200, s78                                  // 000000004770: 804F4EFF 00000200
	s_add_u32 s80, 0x200, s79                                  // 000000004778: 80504FFF 00000200
	s_add_u32 s81, 0x200, s80                                  // 000000004780: 805150FF 00000200
	s_mul_i32 s60, s46, 0x400                                  // 000000004788: 923CFF2E 00000400
	s_add_u32 s82, 0, s60                                      // 000000004790: 80523C80
	s_add_u32 s83, 0x1000, s82                                 // 000000004794: 805352FF 00001000
	s_add_u32 s84, 0x1000, s83                                 // 00000000479C: 805453FF 00001000
	s_add_u32 s85, 0x1000, s84                                 // 0000000047A4: 805554FF 00001000
	s_add_u32 s86, 0x4000, s60                                 // 0000000047AC: 80563CFF 00004000
	s_add_u32 s87, 0x1000, s86                                 // 0000000047B4: 805756FF 00001000
	s_add_u32 s88, 0x1000, s87                                 // 0000000047BC: 805857FF 00001000
	s_add_u32 s89, 0x1000, s88                                 // 0000000047C4: 805958FF 00001000
	v_lshrrev_b32_e32 v20, 4, v0                               // 0000000047CC: 20280084
	v_and_b32_e32 v21, 1, v20                                  // 0000000047D0: 262A2881
	v_lshrrev_b32_e32 v22, 1, v20                              // 0000000047D4: 202C2881
	v_and_b32_e32 v20, 15, v0                                  // 0000000047D8: 2628008F
	v_lshlrev_b32_e32 v9, 4, v20                               // 0000000047DC: 24122884
	v_lshrrev_b32_e32 v20, 3, v20                              // 0000000047E0: 20282883
	v_xor_b32_e32 v20, v20, v22                                // 0000000047E4: 2A282D14
	v_lshlrev_b32_e32 v20, 1, v20                              // 0000000047E8: 24282881
	v_add_u32_e32 v20, v21, v20                                // 0000000047EC: 68282915
	v_lshlrev_b32_e32 v20, 2, v20                              // 0000000047F0: 24282882
	v_add_u32_e32 v9, v20, v9                                  // 0000000047F4: 68121314
	v_lshlrev_b32_e32 v9, 2, v9                                // 0000000047F8: 24121282
	s_mul_i32 s60, s46, 0x1000                                 // 0000000047FC: 923CFF2E 00001000
	v_add_u32_e32 v14, s60, v9                                 // 000000004804: 681C123C
	v_and_b32_e32 v20, 15, v0                                  // 000000004808: 2628008F
	v_and_b32_e32 v21, 3, v20                                  // 00000000480C: 262A2883
	v_lshrrev_b32_e32 v22, 2, v20                              // 000000004810: 202C2882
	v_lshlrev_b32_e32 v21, 1, v21                              // 000000004814: 242A2A81
	v_lshlrev_b32_e32 v22, 4, v22                              // 000000004818: 242C2C84
	v_add_u32_e32 v10, v21, v22                                // 00000000481C: 68142D15
	v_lshrrev_b32_e32 v20, 5, v0                               // 000000004820: 20280085
	v_mul_i32_i24_e32 v21, 0x400, v20                          // 000000004824: 0C2A28FF 00000400
	v_mul_i32_i24_e32 v22, 0x80, v20                           // 00000000482C: 0C2C28FF 00000080
	v_add_u32_e32 v15, v21, v10                                // 000000004834: 681E1515
	v_add_u32_e32 v10, v22, v10                                // 000000004838: 68141516
	v_lshrrev_b32_e32 v21, 4, v0                               // 00000000483C: 202A0084
	v_and_b32_e32 v21, 1, v21                                  // 000000004840: 262A2A81
	v_mul_i32_i24_e32 v22, 0x80, v21                           // 000000004844: 0C2C2AFF 00000080
	v_add_u32_e32 v15, v22, v15                                // 00000000484C: 681E1F16
	v_xor_b32_e32 v20, v20, v21                                // 000000004850: 2A282B14
	v_mul_i32_i24_e32 v20, 8, v20                              // 000000004854: 0C282888
	v_add_u32_e32 v10, v20, v10                                // 000000004858: 68141514
	v_mul_i32_i24_e32 v20, 8, v21                              // 00000000485C: 0C282A88
	v_xor_b32_e32 v21, 1, v21                                  // 000000004860: 2A2A2A81
	v_mul_i32_i24_e32 v21, 8, v21                              // 000000004864: 0C2A2A88
	v_add_u32_e32 v16, v21, v15                                // 000000004868: 68201F15
	v_add_u32_e32 v15, v20, v15                                // 00000000486C: 681E1F14
	v_lshlrev_b32_e32 v10, 2, v10                              // 000000004870: 24141482
	v_lshlrev_b32_e32 v15, 2, v15                              // 000000004874: 241E1E82
	v_lshlrev_b32_e32 v16, 2, v16                              // 000000004878: 24202082
	s_mul_i32 s60, s46, 0x400                                  // 00000000487C: 923CFF2E 00000400
	v_add_u32_e32 v15, s60, v15                                // 000000004884: 681E1E3C
	v_add_u32_e32 v16, s60, v16                                // 000000004888: 6820203C
	v_lshrrev_b32_e32 v20, 4, v0                               // 00000000488C: 20280084
	v_mul_i32_i24_e32 v13, 4, v20                              // 000000004890: 0C1A2884
	v_and_b32_e32 v21, 3, v0                                   // 000000004894: 262A0083
	v_add_u32_e32 v13, v21, v13                                // 000000004898: 681A1B15
	v_lshlrev_b32_e32 v13, 2, v13                              // 00000000489C: 241A1A82
	v_and_b32_e32 v20, 15, v0                                  // 0000000048A0: 2628008F
	v_and_b32_e32 v21, 3, v20                                  // 0000000048A4: 262A2883
	v_and_b32_e32 v22, 1, v21                                  // 0000000048A8: 262C2A81
	v_lshlrev_b32_e32 v11, 5, v22                              // 0000000048AC: 24162C85
	v_lshrrev_b32_e32 v21, 1, v21                              // 0000000048B0: 202A2A81
	v_mul_i32_i24_e32 v21, 0x48, v21                           // 0000000048B4: 0C2A2AFF 00000048
	v_add_u32_e32 v11, v21, v11                                // 0000000048BC: 68161715
	v_lshrrev_b32_e32 v21, 2, v20                              // 0000000048C0: 202A2882
	v_lshlrev_b32_e32 v21, 1, v21                              // 0000000048C4: 242A2A81
	v_add_u32_e32 v11, v21, v11                                // 0000000048C8: 68161715
	v_lshrrev_b32_e32 v20, 5, v0                               // 0000000048CC: 20280085
	v_mul_i32_i24_e32 v20, 0x90, v20                           // 0000000048D0: 0C2828FF 00000090
	v_and_b32_e32 v21, 16, v0                                  // 0000000048D8: 262A0090
	v_add_u32_e32 v11, v20, v11                                // 0000000048DC: 68161714
	v_add_u32_e32 v11, v21, v11                                // 0000000048E0: 68161715
	v_lshlrev_b32_e32 v11, 2, v11                              // 0000000048E4: 24161682
	v_lshrrev_b32_e32 v20, 5, v0                               // 0000000048E8: 20280085
	v_mul_i32_i24_e32 v12, 0x48, v20                           // 0000000048EC: 0C1828FF 00000048
	v_and_b32_e32 v20, 31, v0                                  // 0000000048F4: 2628009F
	v_lshlrev_b32_e32 v20, 1, v20                              // 0000000048F8: 24282881
	v_add_u32_e32 v12, v20, v12                                // 0000000048FC: 68181914
	s_mul_i32 s60, s46, 0x90                                   // 000000004900: 923CFF2E 00000090
	v_add_u32_e32 v12, s60, v12                                // 000000004908: 6818183C
	v_lshlrev_b32_e32 v12, 2, v12                              // 00000000490C: 24181882
	s_lshl_b32 s60, s46, 2                                     // 000000004910: 8E3C822E
	v_and_b32_e32 v20, 3, v0                                   // 000000004914: 26280083
	v_and_b32_e32 v21, 1, v20                                  // 000000004918: 262A2881
	v_lshrrev_b32_e32 v22, 1, v20                              // 00000000491C: 202C2881
	v_lshrrev_b32_e32 v20, 5, v0                               // 000000004920: 20280085
	v_xor_b32_e32 v22, v22, v20                                // 000000004924: 2A2C2916
	v_lshlrev_b32_e32 v22, 1, v22                              // 000000004928: 242C2C81
	v_add_u32_e32 v21, v22, v21                                // 00000000492C: 682A2B16
	v_add_u32_e64 v21, v21, s60                                // 000000004930: D1340015 00007915
	s_lshr_b32 s60, s63, 3                                     // 000000004938: 8F3C833F
	v_cmp_lt_u32_e64 s[44:45], v21, s60                        // 00000000493C: D0C9002C 00007915
	s_mov_b32 s100, -1                                         // 000000004944: BEE400C1
	s_mov_b32 s101, -1                                         // 000000004948: BEE500C1
	v_accvgpr_write_b32 a0, 0                                  // 00000000494C: D3D94000 18000080
	v_accvgpr_write_b32 a1, 0                                  // 000000004954: D3D94001 18000080
	v_accvgpr_write_b32 a2, 0                                  // 00000000495C: D3D94002 18000080
	v_accvgpr_write_b32 a3, 0                                  // 000000004964: D3D94003 18000080
	s_lshr_b32 s60, s46, 1                                     // 00000000496C: 8F3C812E
	s_mul_i32 s60, s60, 4                                      // 000000004970: 923C843C
	s_and_b32 s61, s46, 1                                      // 000000004974: 863D812E
	s_addk_i32 s61, 0x2                                        // 000000004978: B73D0002
	s_add_u32 s60, s61, s60                                    // 00000000497C: 803C3C3D
	s_mul_i32 s60, s60, 0x400                                  // 000000004980: 923CFF3C 00000400
	v_mov_b32_e32 v20, s60                                     // 000000004988: 7E28023C
	v_lshlrev_b32_e32 v21, 4, v0                               // 00000000498C: 242A0084
	v_add_u32_e32 v20, v20, v21                                // 000000004990: 68282B14
	ds_write_b128 v20, a[0:3]                                  // 000000004994: DBBE0000 00000014
	ds_write_b128 v20, a[0:3] offset:8192                      // 00000000499C: DBBE2000 00000014
	ds_write_b128 v20, a[0:3] offset:16384                     // 0000000049A4: DBBE4000 00000014
	ds_write_b128 v20, a[0:3] offset:24576                     // 0000000049AC: DBBE6000 00000014
	ds_write_b128 v20, a[0:3] offset:32768                     // 0000000049B4: DBBE8000 00000014
	ds_write_b128 v20, a[0:3] offset:40960                     // 0000000049BC: DBBEA000 00000014
	ds_write_b128 v20, a[0:3] offset:49152                     // 0000000049C4: DBBEC000 00000014
	ds_write_b128 v20, a[0:3] offset:57344                     // 0000000049CC: DBBEE000 00000014
	s_waitcnt lgkmcnt(0)                                       // 0000000049D4: BF8CC07F
	s_barrier                                                  // 0000000049D8: BF8A0000
	s_mul_i32 s60, s46, 0x400                                  // 0000000049DC: 923CFF2E 00000400
	s_add_u32 m0, 0, s60                                       // 0000000049E4: 807C3C80
	s_mov_b64 exec, s[44:45]                                   // 0000000049E8: BEFE012C
	buffer_load_dwordx4 v254, s[16:19], 0 idxen lds            // 0000000049EC: E05D2000 800400FE
	s_mov_b64 exec, s[100:101]                                 // 0000000049F4: BEFE0164
	s_add_u32 m0, 0x1000, m0                                   // 0000000049F8: 807C7CFF 00001000
	s_mul_i32 s60, 4, s7                                       // 000000004A00: 923C0784
	v_add_u32_e32 v254, s60, v254                              // 000000004A04: 69FDFC3C
	s_mov_b64 exec, s[44:45]                                   // 000000004A08: BEFE012C
	buffer_load_dwordx4 v254, s[16:19], 0 idxen lds            // 000000004A0C: E05D2000 800400FE
	s_mov_b64 exec, s[100:101]                                 // 000000004A14: BEFE0164
	s_add_u32 m0, 0x1000, m0                                   // 000000004A18: 807C7CFF 00001000
	s_mul_i32 s60, 4, s7                                       // 000000004A20: 923C0784
	v_add_u32_e32 v254, s60, v254                              // 000000004A24: 69FDFC3C
	s_mov_b64 exec, s[44:45]                                   // 000000004A28: BEFE012C
	buffer_load_dwordx4 v254, s[16:19], 0 idxen lds            // 000000004A2C: E05D2000 800400FE
	s_mov_b64 exec, s[100:101]                                 // 000000004A34: BEFE0164
	s_add_u32 m0, 0x1000, m0                                   // 000000004A38: 807C7CFF 00001000
	s_mul_i32 s60, 4, s7                                       // 000000004A40: 923C0784
	v_add_u32_e32 v254, s60, v254                              // 000000004A44: 69FDFC3C
	s_mov_b64 exec, s[44:45]                                   // 000000004A48: BEFE012C
	buffer_load_dwordx4 v254, s[16:19], 0 idxen lds            // 000000004A4C: E05D2000 800400FE
	s_mov_b64 exec, s[100:101]                                 // 000000004A54: BEFE0164
	s_add_u32 m0, 0x1000, m0                                   // 000000004A58: 807C7CFF 00001000
	s_mul_i32 s60, 4, s7                                       // 000000004A60: 923C0784
	v_add_u32_e32 v254, s60, v254                              // 000000004A64: 69FDFC3C
	s_mov_b64 exec, s[44:45]                                   // 000000004A68: BEFE012C
	buffer_load_dwordx4 v254, s[16:19], 0 idxen lds            // 000000004A6C: E05D2000 800400FE
	s_mov_b64 exec, s[100:101]                                 // 000000004A74: BEFE0164
	s_add_u32 m0, 0x1000, m0                                   // 000000004A78: 807C7CFF 00001000
	s_mul_i32 s60, 4, s7                                       // 000000004A80: 923C0784
	v_add_u32_e32 v254, s60, v254                              // 000000004A84: 69FDFC3C
	s_mov_b64 exec, s[44:45]                                   // 000000004A88: BEFE012C
	buffer_load_dwordx4 v254, s[16:19], 0 idxen lds            // 000000004A8C: E05D2000 800400FE
	s_mov_b64 exec, s[100:101]                                 // 000000004A94: BEFE0164
	s_add_u32 m0, 0x1000, m0                                   // 000000004A98: 807C7CFF 00001000
	s_mul_i32 s60, 4, s7                                       // 000000004AA0: 923C0784
	v_add_u32_e32 v254, s60, v254                              // 000000004AA4: 69FDFC3C
	s_mov_b64 exec, s[44:45]                                   // 000000004AA8: BEFE012C
	buffer_load_dwordx4 v254, s[16:19], 0 idxen lds            // 000000004AAC: E05D2000 800400FE
	s_mov_b64 exec, s[100:101]                                 // 000000004AB4: BEFE0164
	s_add_u32 m0, 0x1000, m0                                   // 000000004AB8: 807C7CFF 00001000
	s_mul_i32 s60, 4, s7                                       // 000000004AC0: 923C0784
	v_add_u32_e32 v254, s60, v254                              // 000000004AC4: 69FDFC3C
	s_mov_b64 exec, s[44:45]                                   // 000000004AC8: BEFE012C
	buffer_load_dwordx4 v254, s[16:19], 0 idxen lds            // 000000004ACC: E05D2000 800400FE
	s_mov_b64 exec, s[100:101]                                 // 000000004AD4: BEFE0164
	s_add_u32 m0, 0x1000, m0                                   // 000000004AD8: 807C7CFF 00001000
	s_mul_i32 s60, 4, s7                                       // 000000004AE0: 923C0784
	v_add_u32_e32 v254, s60, v254                              // 000000004AE4: 69FDFC3C
	s_mov_b64 exec, s[44:45]                                   // 000000004AE8: BEFE012C
	buffer_load_dwordx4 v254, s[16:19], 0 idxen lds            // 000000004AEC: E05D2000 800400FE
	s_mov_b64 exec, s[100:101]                                 // 000000004AF4: BEFE0164
	s_add_u32 m0, 0x1000, m0                                   // 000000004AF8: 807C7CFF 00001000
	s_mul_i32 s60, 4, s7                                       // 000000004B00: 923C0784
	v_add_u32_e32 v254, s60, v254                              // 000000004B04: 69FDFC3C
	s_mov_b64 exec, s[44:45]                                   // 000000004B08: BEFE012C
	buffer_load_dwordx4 v254, s[16:19], 0 idxen lds            // 000000004B0C: E05D2000 800400FE
	s_mov_b64 exec, s[100:101]                                 // 000000004B14: BEFE0164
	s_add_u32 m0, 0x1000, m0                                   // 000000004B18: 807C7CFF 00001000
	s_mul_i32 s60, 4, s7                                       // 000000004B20: 923C0784
	v_add_u32_e32 v254, s60, v254                              // 000000004B24: 69FDFC3C
	s_mov_b64 exec, s[44:45]                                   // 000000004B28: BEFE012C
	buffer_load_dwordx4 v254, s[16:19], 0 idxen lds            // 000000004B2C: E05D2000 800400FE
	s_mov_b64 exec, s[100:101]                                 // 000000004B34: BEFE0164
	s_add_u32 m0, 0x1000, m0                                   // 000000004B38: 807C7CFF 00001000
	s_mul_i32 s60, 4, s7                                       // 000000004B40: 923C0784
	v_add_u32_e32 v254, s60, v254                              // 000000004B44: 69FDFC3C
	s_mov_b64 exec, s[44:45]                                   // 000000004B48: BEFE012C
	buffer_load_dwordx4 v254, s[16:19], 0 idxen lds            // 000000004B4C: E05D2000 800400FE
	s_mov_b64 exec, s[100:101]                                 // 000000004B54: BEFE0164
	s_add_u32 m0, 0x1000, m0                                   // 000000004B58: 807C7CFF 00001000
	s_mul_i32 s60, 4, s7                                       // 000000004B60: 923C0784
	v_add_u32_e32 v254, s60, v254                              // 000000004B64: 69FDFC3C
	s_mov_b64 exec, s[44:45]                                   // 000000004B68: BEFE012C
	buffer_load_dwordx4 v254, s[16:19], 0 idxen lds            // 000000004B6C: E05D2000 800400FE
	s_mov_b64 exec, s[100:101]                                 // 000000004B74: BEFE0164
	s_add_u32 m0, 0x1000, m0                                   // 000000004B78: 807C7CFF 00001000
	s_mul_i32 s60, 4, s7                                       // 000000004B80: 923C0784
	v_add_u32_e32 v254, s60, v254                              // 000000004B84: 69FDFC3C
	s_mov_b64 exec, s[44:45]                                   // 000000004B88: BEFE012C
	buffer_load_dwordx4 v254, s[16:19], 0 idxen lds            // 000000004B8C: E05D2000 800400FE
	s_mov_b64 exec, s[100:101]                                 // 000000004B94: BEFE0164
	s_add_u32 m0, 0x1000, m0                                   // 000000004B98: 807C7CFF 00001000
	s_mul_i32 s60, 4, s7                                       // 000000004BA0: 923C0784
	v_add_u32_e32 v254, s60, v254                              // 000000004BA4: 69FDFC3C
	s_mov_b64 exec, s[44:45]                                   // 000000004BA8: BEFE012C
	buffer_load_dwordx4 v254, s[16:19], 0 idxen lds            // 000000004BAC: E05D2000 800400FE
	s_mov_b64 exec, s[100:101]                                 // 000000004BB4: BEFE0164
	s_add_u32 m0, 0x1000, m0                                   // 000000004BB8: 807C7CFF 00001000
	s_mul_i32 s60, 4, s7                                       // 000000004BC0: 923C0784
	v_add_u32_e32 v254, s60, v254                              // 000000004BC4: 69FDFC3C
	s_mov_b64 exec, s[44:45]                                   // 000000004BC8: BEFE012C
	buffer_load_dwordx4 v254, s[16:19], 0 idxen lds            // 000000004BCC: E05D2000 800400FE
	s_mov_b64 exec, s[100:101]                                 // 000000004BD4: BEFE0164
	s_add_u32 m0, 0x1000, m0                                   // 000000004BD8: 807C7CFF 00001000
	s_mul_i32 s60, 4, s7                                       // 000000004BE0: 923C0784
	v_add_u32_e32 v254, s60, v254                              // 000000004BE4: 69FDFC3C
	s_lshr_b32 s60, s46, 1                                     // 000000004BE8: 8F3C812E
	s_mul_i32 s60, s60, 4                                      // 000000004BEC: 923C843C
	s_and_b32 s61, s46, 1                                      // 000000004BF0: 863D812E
	s_addk_i32 s61, 0x2                                        // 000000004BF4: B73D0002
	s_add_u32 s60, s61, s60                                    // 000000004BF8: 803C3C3D
	s_mul_i32 s60, s60, 0x400                                  // 000000004BFC: 923CFF3C 00000400
	v_mov_b32_e32 v20, s60                                     // 000000004C04: 7E28023C
	v_lshlrev_b32_e32 v21, 4, v0                               // 000000004C08: 242A0084
	v_add_u32_e32 v20, v20, v21                                // 000000004C0C: 68282B14
	v_add_u32_e32 v20, 0x10000, v20                            // 000000004C10: 682828FF 00010000
	ds_write_b128 v20, a[0:3]                                  // 000000004C18: DBBE0000 00000014
	ds_write_b128 v20, a[0:3] offset:8192                      // 000000004C20: DBBE2000 00000014
	ds_write_b128 v20, a[0:3] offset:16384                     // 000000004C28: DBBE4000 00000014
	ds_write_b128 v20, a[0:3] offset:24576                     // 000000004C30: DBBE6000 00000014
	ds_write_b128 v20, a[0:3] offset:32768                     // 000000004C38: DBBE8000 00000014
	ds_write_b128 v20, a[0:3] offset:40960                     // 000000004C40: DBBEA000 00000014
	ds_write_b128 v20, a[0:3] offset:49152                     // 000000004C48: DBBEC000 00000014
	ds_write_b128 v20, a[0:3] offset:57344                     // 000000004C50: DBBEE000 00000014
	s_mul_i32 s60, s46, 0x400                                  // 000000004C58: 923CFF2E 00000400
	s_add_u32 m0, 0x10000, s60                                 // 000000004C60: 807C3CFF 00010000
	s_waitcnt vmcnt(12) lgkmcnt(0)                             // 000000004C68: BF8C007C
	s_barrier                                                  // 000000004C6C: BF8A0000
	ds_read_b128 a[48:51], v14                                 // 000000004C70: DBFE0000 3000000E
	ds_read_b128 a[52:55], v14 offset:1024                     // 000000004C78: DBFE0400 3400000E
	ds_read_b128 a[56:59], v14 offset:2048                     // 000000004C80: DBFE0800 3800000E
	ds_read_b128 a[60:63], v14 offset:3072                     // 000000004C88: DBFE0C00 3C00000E
	s_waitcnt lgkmcnt(0)                                       // 000000004C90: BF8CC07F
	s_barrier                                                  // 000000004C94: BF8A0000
	s_cmp_lt_i32 0, s72                                        // 000000004C98: BF044880
	s_cbranch_scc1 label_0348                                  // 000000004C9C: BF850020
	v_accvgpr_write_b32 a48, 0                                 // 000000004CA0: D3D94030 18000080
	v_accvgpr_write_b32 a49, 0                                 // 000000004CA8: D3D94031 18000080
	v_accvgpr_write_b32 a50, 0                                 // 000000004CB0: D3D94032 18000080
	v_accvgpr_write_b32 a51, 0                                 // 000000004CB8: D3D94033 18000080
	v_accvgpr_write_b32 a52, 0                                 // 000000004CC0: D3D94034 18000080
	v_accvgpr_write_b32 a53, 0                                 // 000000004CC8: D3D94035 18000080
	v_accvgpr_write_b32 a54, 0                                 // 000000004CD0: D3D94036 18000080
	v_accvgpr_write_b32 a55, 0                                 // 000000004CD8: D3D94037 18000080
	v_accvgpr_write_b32 a56, 0                                 // 000000004CE0: D3D94038 18000080
	v_accvgpr_write_b32 a57, 0                                 // 000000004CE8: D3D94039 18000080
	v_accvgpr_write_b32 a58, 0                                 // 000000004CF0: D3D9403A 18000080
	v_accvgpr_write_b32 a59, 0                                 // 000000004CF8: D3D9403B 18000080
	v_accvgpr_write_b32 a60, 0                                 // 000000004D00: D3D9403C 18000080
	v_accvgpr_write_b32 a61, 0                                 // 000000004D08: D3D9403D 18000080
	v_accvgpr_write_b32 a62, 0                                 // 000000004D10: D3D9403E 18000080
	v_accvgpr_write_b32 a63, 0                                 // 000000004D18: D3D9403F 18000080

0000000000004d20 <label_0348>:
	s_mov_b64 exec, s[44:45]                                   // 000000004D20: BEFE012C
	buffer_load_dwordx4 v1, s[12:15], 0 idxen lds              // 000000004D24: E05D2000 80030001
	s_mov_b64 exec, s[100:101]                                 // 000000004D2C: BEFE0164
	s_add_u32 m0, 0x1000, m0                                   // 000000004D30: 807C7CFF 00001000
	s_mul_i32 s60, 4, s6                                       // 000000004D38: 923C0684
	v_add_u32_e32 v1, s60, v1                                  // 000000004D3C: 6802023C
	s_mov_b64 exec, s[44:45]                                   // 000000004D40: BEFE012C
	buffer_load_dwordx4 v1, s[12:15], 0 idxen lds              // 000000004D44: E05D2000 80030001
	s_mov_b64 exec, s[100:101]                                 // 000000004D4C: BEFE0164
	s_add_u32 m0, 0x1000, m0                                   // 000000004D50: 807C7CFF 00001000
	s_mul_i32 s60, 4, s6                                       // 000000004D58: 923C0684
	v_add_u32_e32 v1, s60, v1                                  // 000000004D5C: 6802023C
	s_mov_b64 exec, s[44:45]                                   // 000000004D60: BEFE012C
	buffer_load_dwordx4 v1, s[12:15], 0 idxen lds              // 000000004D64: E05D2000 80030001
	s_mov_b64 exec, s[100:101]                                 // 000000004D6C: BEFE0164
	s_add_u32 m0, 0x1000, m0                                   // 000000004D70: 807C7CFF 00001000
	s_mul_i32 s60, 4, s6                                       // 000000004D78: 923C0684
	v_add_u32_e32 v1, s60, v1                                  // 000000004D7C: 6802023C
	s_mov_b64 exec, s[44:45]                                   // 000000004D80: BEFE012C
	buffer_load_dwordx4 v1, s[12:15], 0 idxen lds              // 000000004D84: E05D2000 80030001
	s_mov_b64 exec, s[100:101]                                 // 000000004D8C: BEFE0164
	s_add_u32 m0, 0x1000, m0                                   // 000000004D90: 807C7CFF 00001000
	s_mul_i32 s60, 4, s6                                       // 000000004D98: 923C0684
	v_add_u32_e32 v1, s60, v1                                  // 000000004D9C: 6802023C
	s_waitcnt vmcnt(12) lgkmcnt(0)                             // 000000004DA0: BF8C007C
	s_barrier                                                  // 000000004DA4: BF8A0000
	ds_read_b128 a[64:67], v14 offset:16384                    // 000000004DA8: DBFE4000 4000000E
	ds_read_b128 a[68:71], v14 offset:17408                    // 000000004DB0: DBFE4400 4400000E
	ds_read_b128 a[72:75], v14 offset:18432                    // 000000004DB8: DBFE4800 4800000E
	ds_read_b128 a[76:79], v14 offset:19456                    // 000000004DC0: DBFE4C00 4C00000E
	s_waitcnt lgkmcnt(0)                                       // 000000004DC8: BF8CC07F
	s_barrier                                                  // 000000004DCC: BF8A0000
	s_cmp_lt_i32 0, s72                                        // 000000004DD0: BF044880
	s_cbranch_scc1 label_0396                                  // 000000004DD4: BF850020
	v_accvgpr_write_b32 a64, 0                                 // 000000004DD8: D3D94040 18000080
	v_accvgpr_write_b32 a65, 0                                 // 000000004DE0: D3D94041 18000080
	v_accvgpr_write_b32 a66, 0                                 // 000000004DE8: D3D94042 18000080
	v_accvgpr_write_b32 a67, 0                                 // 000000004DF0: D3D94043 18000080
	v_accvgpr_write_b32 a68, 0                                 // 000000004DF8: D3D94044 18000080
	v_accvgpr_write_b32 a69, 0                                 // 000000004E00: D3D94045 18000080
	v_accvgpr_write_b32 a70, 0                                 // 000000004E08: D3D94046 18000080
	v_accvgpr_write_b32 a71, 0                                 // 000000004E10: D3D94047 18000080
	v_accvgpr_write_b32 a72, 0                                 // 000000004E18: D3D94048 18000080
	v_accvgpr_write_b32 a73, 0                                 // 000000004E20: D3D94049 18000080
	v_accvgpr_write_b32 a74, 0                                 // 000000004E28: D3D9404A 18000080
	v_accvgpr_write_b32 a75, 0                                 // 000000004E30: D3D9404B 18000080
	v_accvgpr_write_b32 a76, 0                                 // 000000004E38: D3D9404C 18000080
	v_accvgpr_write_b32 a77, 0                                 // 000000004E40: D3D9404D 18000080
	v_accvgpr_write_b32 a78, 0                                 // 000000004E48: D3D9404E 18000080
	v_accvgpr_write_b32 a79, 0                                 // 000000004E50: D3D9404F 18000080

0000000000004e58 <label_0396>:
	s_mov_b64 exec, s[44:45]                                   // 000000004E58: BEFE012C
	buffer_load_dwordx4 v1, s[12:15], 0 idxen lds              // 000000004E5C: E05D2000 80030001
	s_mov_b64 exec, s[100:101]                                 // 000000004E64: BEFE0164
	s_add_u32 m0, 0x1000, m0                                   // 000000004E68: 807C7CFF 00001000
	s_mul_i32 s60, 4, s6                                       // 000000004E70: 923C0684
	v_add_u32_e32 v1, s60, v1                                  // 000000004E74: 6802023C
	s_mov_b64 exec, s[44:45]                                   // 000000004E78: BEFE012C
	buffer_load_dwordx4 v1, s[12:15], 0 idxen lds              // 000000004E7C: E05D2000 80030001
	s_mov_b64 exec, s[100:101]                                 // 000000004E84: BEFE0164
	s_add_u32 m0, 0x1000, m0                                   // 000000004E88: 807C7CFF 00001000
	s_mul_i32 s60, 4, s6                                       // 000000004E90: 923C0684
	v_add_u32_e32 v1, s60, v1                                  // 000000004E94: 6802023C
	s_mov_b64 exec, s[44:45]                                   // 000000004E98: BEFE012C
	buffer_load_dwordx4 v1, s[12:15], 0 idxen lds              // 000000004E9C: E05D2000 80030001
	s_mov_b64 exec, s[100:101]                                 // 000000004EA4: BEFE0164
	s_add_u32 m0, 0x1000, m0                                   // 000000004EA8: 807C7CFF 00001000
	s_mul_i32 s60, 4, s6                                       // 000000004EB0: 923C0684
	v_add_u32_e32 v1, s60, v1                                  // 000000004EB4: 6802023C
	s_mov_b64 exec, s[44:45]                                   // 000000004EB8: BEFE012C
	buffer_load_dwordx4 v1, s[12:15], 0 idxen lds              // 000000004EBC: E05D2000 80030001
	s_mov_b64 exec, s[100:101]                                 // 000000004EC4: BEFE0164
	s_add_u32 m0, 0x1000, m0                                   // 000000004EC8: 807C7CFF 00001000
	s_mul_i32 s60, 4, s6                                       // 000000004ED0: 923C0684
	v_add_u32_e32 v1, s60, v1                                  // 000000004ED4: 6802023C
	s_waitcnt vmcnt(12) lgkmcnt(0)                             // 000000004ED8: BF8C007C
	s_barrier                                                  // 000000004EDC: BF8A0000
	ds_read_b128 a[80:83], v14 offset:32768                    // 000000004EE0: DBFE8000 5000000E
	ds_read_b128 a[84:87], v14 offset:33792                    // 000000004EE8: DBFE8400 5400000E
	ds_read_b128 a[88:91], v14 offset:34816                    // 000000004EF0: DBFE8800 5800000E
	ds_read_b128 a[92:95], v14 offset:35840                    // 000000004EF8: DBFE8C00 5C00000E
	s_waitcnt lgkmcnt(0)                                       // 000000004F00: BF8CC07F
	s_barrier                                                  // 000000004F04: BF8A0000
	s_cmp_lt_i32 1, s72                                        // 000000004F08: BF044881
	s_cbranch_scc1 label_03E4                                  // 000000004F0C: BF850020
	v_accvgpr_write_b32 a80, 0                                 // 000000004F10: D3D94050 18000080
	v_accvgpr_write_b32 a81, 0                                 // 000000004F18: D3D94051 18000080
	v_accvgpr_write_b32 a82, 0                                 // 000000004F20: D3D94052 18000080
	v_accvgpr_write_b32 a83, 0                                 // 000000004F28: D3D94053 18000080
	v_accvgpr_write_b32 a84, 0                                 // 000000004F30: D3D94054 18000080
	v_accvgpr_write_b32 a85, 0                                 // 000000004F38: D3D94055 18000080
	v_accvgpr_write_b32 a86, 0                                 // 000000004F40: D3D94056 18000080
	v_accvgpr_write_b32 a87, 0                                 // 000000004F48: D3D94057 18000080
	v_accvgpr_write_b32 a88, 0                                 // 000000004F50: D3D94058 18000080
	v_accvgpr_write_b32 a89, 0                                 // 000000004F58: D3D94059 18000080
	v_accvgpr_write_b32 a90, 0                                 // 000000004F60: D3D9405A 18000080
	v_accvgpr_write_b32 a91, 0                                 // 000000004F68: D3D9405B 18000080
	v_accvgpr_write_b32 a92, 0                                 // 000000004F70: D3D9405C 18000080
	v_accvgpr_write_b32 a93, 0                                 // 000000004F78: D3D9405D 18000080
	v_accvgpr_write_b32 a94, 0                                 // 000000004F80: D3D9405E 18000080
	v_accvgpr_write_b32 a95, 0                                 // 000000004F88: D3D9405F 18000080

0000000000004f90 <label_03E4>:
	s_mov_b64 exec, s[44:45]                                   // 000000004F90: BEFE012C
	buffer_load_dwordx4 v1, s[12:15], 0 idxen lds              // 000000004F94: E05D2000 80030001
	s_mov_b64 exec, s[100:101]                                 // 000000004F9C: BEFE0164
	s_add_u32 m0, 0x1000, m0                                   // 000000004FA0: 807C7CFF 00001000
	s_mul_i32 s60, 4, s6                                       // 000000004FA8: 923C0684
	v_add_u32_e32 v1, s60, v1                                  // 000000004FAC: 6802023C
	s_mov_b64 exec, s[44:45]                                   // 000000004FB0: BEFE012C
	buffer_load_dwordx4 v1, s[12:15], 0 idxen lds              // 000000004FB4: E05D2000 80030001
	s_mov_b64 exec, s[100:101]                                 // 000000004FBC: BEFE0164
	s_add_u32 m0, 0x1000, m0                                   // 000000004FC0: 807C7CFF 00001000
	s_mul_i32 s60, 4, s6                                       // 000000004FC8: 923C0684
	v_add_u32_e32 v1, s60, v1                                  // 000000004FCC: 6802023C
	s_mov_b64 exec, s[44:45]                                   // 000000004FD0: BEFE012C
	buffer_load_dwordx4 v1, s[12:15], 0 idxen lds              // 000000004FD4: E05D2000 80030001
	s_mov_b64 exec, s[100:101]                                 // 000000004FDC: BEFE0164
	s_add_u32 m0, 0x1000, m0                                   // 000000004FE0: 807C7CFF 00001000
	s_mul_i32 s60, 4, s6                                       // 000000004FE8: 923C0684
	v_add_u32_e32 v1, s60, v1                                  // 000000004FEC: 6802023C
	s_mov_b64 exec, s[44:45]                                   // 000000004FF0: BEFE012C
	buffer_load_dwordx4 v1, s[12:15], 0 idxen lds              // 000000004FF4: E05D2000 80030001
	s_mov_b64 exec, s[100:101]                                 // 000000004FFC: BEFE0164
	s_add_u32 m0, 0x1000, m0                                   // 000000005000: 807C7CFF 00001000
	s_mul_i32 s60, 4, s6                                       // 000000005008: 923C0684
	v_add_u32_e32 v1, s60, v1                                  // 00000000500C: 6802023C
	s_waitcnt vmcnt(12) lgkmcnt(0)                             // 000000005010: BF8C007C
	s_barrier                                                  // 000000005014: BF8A0000
	ds_read_b128 a[96:99], v14 offset:49152                    // 000000005018: DBFEC000 6000000E
	ds_read_b128 a[100:103], v14 offset:50176                  // 000000005020: DBFEC400 6400000E
	ds_read_b128 a[104:107], v14 offset:51200                  // 000000005028: DBFEC800 6800000E
	ds_read_b128 a[108:111], v14 offset:52224                  // 000000005030: DBFECC00 6C00000E
	s_waitcnt lgkmcnt(0)                                       // 000000005038: BF8CC07F
	s_barrier                                                  // 00000000503C: BF8A0000
	s_cmp_lt_i32 1, s72                                        // 000000005040: BF044881
	s_cbranch_scc1 label_0432                                  // 000000005044: BF850020
	v_accvgpr_write_b32 a96, 0                                 // 000000005048: D3D94060 18000080
	v_accvgpr_write_b32 a97, 0                                 // 000000005050: D3D94061 18000080
	v_accvgpr_write_b32 a98, 0                                 // 000000005058: D3D94062 18000080
	v_accvgpr_write_b32 a99, 0                                 // 000000005060: D3D94063 18000080
	v_accvgpr_write_b32 a100, 0                                // 000000005068: D3D94064 18000080
	v_accvgpr_write_b32 a101, 0                                // 000000005070: D3D94065 18000080
	v_accvgpr_write_b32 a102, 0                                // 000000005078: D3D94066 18000080
	v_accvgpr_write_b32 a103, 0                                // 000000005080: D3D94067 18000080
	v_accvgpr_write_b32 a104, 0                                // 000000005088: D3D94068 18000080
	v_accvgpr_write_b32 a105, 0                                // 000000005090: D3D94069 18000080
	v_accvgpr_write_b32 a106, 0                                // 000000005098: D3D9406A 18000080
	v_accvgpr_write_b32 a107, 0                                // 0000000050A0: D3D9406B 18000080
	v_accvgpr_write_b32 a108, 0                                // 0000000050A8: D3D9406C 18000080
	v_accvgpr_write_b32 a109, 0                                // 0000000050B0: D3D9406D 18000080
	v_accvgpr_write_b32 a110, 0                                // 0000000050B8: D3D9406E 18000080
	v_accvgpr_write_b32 a111, 0                                // 0000000050C0: D3D9406F 18000080

00000000000050c8 <label_0432>:
	s_mov_b64 exec, s[44:45]                                   // 0000000050C8: BEFE012C
	buffer_load_dwordx4 v1, s[12:15], 0 idxen lds              // 0000000050CC: E05D2000 80030001
	s_mov_b64 exec, s[100:101]                                 // 0000000050D4: BEFE0164
	s_add_u32 m0, 0x1000, m0                                   // 0000000050D8: 807C7CFF 00001000
	s_mul_i32 s60, 4, s6                                       // 0000000050E0: 923C0684
	v_add_u32_e32 v1, s60, v1                                  // 0000000050E4: 6802023C
	s_mov_b64 exec, s[44:45]                                   // 0000000050E8: BEFE012C
	buffer_load_dwordx4 v1, s[12:15], 0 idxen lds              // 0000000050EC: E05D2000 80030001
	s_mov_b64 exec, s[100:101]                                 // 0000000050F4: BEFE0164
	s_add_u32 m0, 0x1000, m0                                   // 0000000050F8: 807C7CFF 00001000
	s_mul_i32 s60, 4, s6                                       // 000000005100: 923C0684
	v_add_u32_e32 v1, s60, v1                                  // 000000005104: 6802023C
	s_mov_b64 exec, s[44:45]                                   // 000000005108: BEFE012C
	buffer_load_dwordx4 v1, s[12:15], 0 idxen lds              // 00000000510C: E05D2000 80030001
	s_mov_b64 exec, s[100:101]                                 // 000000005114: BEFE0164
	s_add_u32 m0, 0x1000, m0                                   // 000000005118: 807C7CFF 00001000
	s_mul_i32 s60, 4, s6                                       // 000000005120: 923C0684
	v_add_u32_e32 v1, s60, v1                                  // 000000005124: 6802023C
	s_mov_b64 exec, s[44:45]                                   // 000000005128: BEFE012C
	buffer_load_dwordx4 v1, s[12:15], 0 idxen lds              // 00000000512C: E05D2000 80030001
	s_mov_b64 exec, s[100:101]                                 // 000000005134: BEFE0164
	s_add_u32 m0, 0x1000, m0                                   // 000000005138: 807C7CFF 00001000
	s_mul_i32 s60, 4, s6                                       // 000000005140: 923C0684
	v_add_u32_e32 v1, s60, v1                                  // 000000005144: 6802023C
	v_add_u32_e32 v14, 0x10000, v14                            // 000000005148: 681C1CFF 00010000
	v_add_u32_e32 v15, 0x10000, v15                            // 000000005150: 681E1EFF 00010000
	v_add_u32_e32 v16, 0x10000, v16                            // 000000005158: 682020FF 00010000
	s_mov_b32 s71, s5                                          // 000000005160: BEC70005
	v_and_b32_e32 v20, 3, v0                                   // 000000005164: 26280083
	v_and_b32_e32 v21, 1, v20                                  // 000000005168: 262A2881
	v_lshrrev_b32_e32 v22, 1, v20                              // 00000000516C: 202C2881
	v_lshrrev_b32_e32 v20, 5, v0                               // 000000005170: 20280085
	v_xor_b32_e32 v22, v22, v20                                // 000000005174: 2A2C2916
	v_lshlrev_b32_e32 v22, 1, v22                              // 000000005178: 242C2C81
	v_add_u32_e32 v21, v22, v21                                // 00000000517C: 682A2B16
	v_lshlrev_b32_e32 v21, 4, v21                              // 000000005180: 242A2A84
	v_lshrrev_b32_e32 v20, 2, v0                               // 000000005184: 20280082
	v_mul_i32_i24_e32 v20, s71, v20                            // 000000005188: 0C282847
	v_add_u32_e32 v1, v20, v21                                 // 00000000518C: 68022B14
	s_mul_i32 s60, s46, 64                                     // 000000005190: 923CC02E
	v_add_u32_e32 v1, s60, v1                                  // 000000005194: 6802023C
	s_mul_i32 s60, s5, s59                                     // 000000005198: 923C3B05
	v_add_u32_e32 v1, s60, v1                                  // 00000000519C: 6802023C
	s_mov_b32 s71, s51                                         // 0000000051A0: BEC70033
	v_and_b32_e32 v20, 3, v0                                   // 0000000051A4: 26280083
	v_and_b32_e32 v21, 1, v20                                  // 0000000051A8: 262A2881
	v_lshrrev_b32_e32 v22, 1, v20                              // 0000000051AC: 202C2881
	v_lshrrev_b32_e32 v20, 5, v0                               // 0000000051B0: 20280085
	v_xor_b32_e32 v22, v22, v20                                // 0000000051B4: 2A2C2916
	v_lshlrev_b32_e32 v22, 1, v22                              // 0000000051B8: 242C2C81
	v_add_u32_e32 v21, v22, v21                                // 0000000051BC: 682A2B16
	v_lshlrev_b32_e32 v21, 4, v21                              // 0000000051C0: 242A2A84
	v_lshrrev_b32_e32 v20, 2, v0                               // 0000000051C4: 20280082
	v_mul_i32_i24_e32 v20, s71, v20                            // 0000000051C8: 0C282847
	v_add_u32_e32 v254, v20, v21                               // 0000000051CC: 69FC2B14
	s_mul_i32 s60, s46, 64                                     // 0000000051D0: 923CC02E
	v_add_u32_e32 v254, s60, v254                              // 0000000051D4: 69FDFC3C
	s_mul_i32 s60, s51, s59                                    // 0000000051D8: 923C3B33
	v_add_u32_e32 v254, s60, v254                              // 0000000051DC: 69FDFC3C
	v_lshrrev_b32_e32 v1, 2, v1                                // 0000000051E0: 20020282
	v_lshrrev_b32_e32 v254, 2, v254                            // 0000000051E4: 21FDFC82
	s_mov_b32 m0, s82                                          // 0000000051E8: BEFC0052
	buffer_load_dwordx4 v1, s[8:11], 0 idxen lds               // 0000000051EC: E05D2000 80020001
	s_mov_b32 m0, s86                                          // 0000000051F4: BEFC0056
	buffer_load_dwordx4 v254, s[20:23], 0 idxen lds            // 0000000051F8: E05D2000 800500FE
	s_mov_b32 m0, s78                                          // 000000005200: BEFC004E
	buffer_load_dword v8, s[24:27], 0 idxen lds                // 000000005204: E0512000 80060008
	v_add_u32_e32 v1, s68, v1                                  // 00000000520C: 68020244
	v_add_u32_e32 v254, s98, v254                              // 000000005210: 69FDFC62
	v_add_u32_e32 v8, s69, v8                                  // 000000005214: 68101045
	s_mov_b32 m0, s83                                          // 000000005218: BEFC0053
	buffer_load_dwordx4 v1, s[8:11], 0 idxen lds               // 00000000521C: E05D2000 80020001
	s_mov_b32 m0, s87                                          // 000000005224: BEFC0057
	buffer_load_dwordx4 v254, s[20:23], 0 idxen lds            // 000000005228: E05D2000 800500FE
	s_mov_b32 m0, s79                                          // 000000005230: BEFC004F
	buffer_load_dword v8, s[24:27], 0 idxen lds                // 000000005234: E0512000 80060008
	v_add_u32_e32 v1, s68, v1                                  // 00000000523C: 68020244
	v_add_u32_e32 v254, s98, v254                              // 000000005240: 69FDFC62
	v_add_u32_e32 v8, s69, v8                                  // 000000005244: 68101045
	s_waitcnt vmcnt(3) lgkmcnt(0)                              // 000000005248: BF8C0073
	s_barrier                                                  // 00000000524C: BF8A0000
	ds_read_b128 a[112:115], v9                                // 000000005250: DBFE0000 70000009
	ds_read_b128 a[116:119], v9 offset:1024                    // 000000005258: DBFE0400 74000009
	ds_read_b128 a[120:123], v9 offset:2048                    // 000000005260: DBFE0800 78000009
	ds_read_b128 a[124:127], v9 offset:3072                    // 000000005268: DBFE0C00 7C000009
	ds_read_b32 v104, v13 offset:41984                         // 000000005270: D86CA400 6800000D
	ds_read_b32 v124, v13 offset:42240                         // 000000005278: D86CA500 7C00000D
	ds_read_b128 a[0:3], v14                                   // 000000005280: DBFE0000 0000000E
	ds_read_b128 a[4:7], v14 offset:1024                       // 000000005288: DBFE0400 0400000E
	ds_read_b128 a[8:11], v14 offset:2048                      // 000000005290: DBFE0800 0800000E
	ds_read_b128 a[12:15], v14 offset:3072                     // 000000005298: DBFE0C00 0C00000E
	ds_read_b128 a[16:19], v14 offset:16384                    // 0000000052A0: DBFE4000 1000000E
	ds_read_b128 a[20:23], v14 offset:17408                    // 0000000052A8: DBFE4400 1400000E
	ds_read_b128 a[24:27], v14 offset:18432                    // 0000000052B0: DBFE4800 1800000E
	ds_read_b128 a[28:31], v14 offset:19456                    // 0000000052B8: DBFE4C00 1C00000E
	v_accvgpr_write_b32 a128, 0                                // 0000000052C0: D3D94080 18000080
	v_mov_b32_e32 v126, 0                                      // 0000000052C8: 7EFC0280
	v_accvgpr_write_b32 a129, 0                                // 0000000052CC: D3D94081 18000080
	v_mov_b32_e32 v127, 0                                      // 0000000052D4: 7EFE0280
	v_accvgpr_write_b32 a130, 0                                // 0000000052D8: D3D94082 18000080
	v_mov_b32_e32 v128, 0                                      // 0000000052E0: 7F000280
	v_accvgpr_write_b32 a131, 0                                // 0000000052E4: D3D94083 18000080
	v_mov_b32_e32 v129, 0                                      // 0000000052EC: 7F020280
	v_accvgpr_write_b32 a132, 0                                // 0000000052F0: D3D94084 18000080
	v_mov_b32_e32 v130, 0                                      // 0000000052F8: 7F040280
	v_accvgpr_write_b32 a133, 0                                // 0000000052FC: D3D94085 18000080
	v_mov_b32_e32 v131, 0                                      // 000000005304: 7F060280
	v_accvgpr_write_b32 a134, 0                                // 000000005308: D3D94086 18000080
	v_mov_b32_e32 v132, 0                                      // 000000005310: 7F080280
	v_accvgpr_write_b32 a135, 0                                // 000000005314: D3D94087 18000080
	v_mov_b32_e32 v133, 0                                      // 00000000531C: 7F0A0280
	v_accvgpr_write_b32 a136, 0                                // 000000005320: D3D94088 18000080
	v_mov_b32_e32 v134, 0                                      // 000000005328: 7F0C0280
	v_accvgpr_write_b32 a137, 0                                // 00000000532C: D3D94089 18000080
	v_mov_b32_e32 v135, 0                                      // 000000005334: 7F0E0280
	v_accvgpr_write_b32 a138, 0                                // 000000005338: D3D9408A 18000080
	v_mov_b32_e32 v136, 0                                      // 000000005340: 7F100280
	v_accvgpr_write_b32 a139, 0                                // 000000005344: D3D9408B 18000080
	v_mov_b32_e32 v137, 0                                      // 00000000534C: 7F120280
	v_accvgpr_write_b32 a140, 0                                // 000000005350: D3D9408C 18000080
	v_mov_b32_e32 v138, 0                                      // 000000005358: 7F140280
	v_accvgpr_write_b32 a141, 0                                // 00000000535C: D3D9408D 18000080
	v_mov_b32_e32 v139, 0                                      // 000000005364: 7F160280
	v_accvgpr_write_b32 a142, 0                                // 000000005368: D3D9408E 18000080
	v_mov_b32_e32 v140, 0                                      // 000000005370: 7F180280
	v_accvgpr_write_b32 a143, 0                                // 000000005374: D3D9408F 18000080
	v_mov_b32_e32 v141, 0                                      // 00000000537C: 7F1A0280
	v_accvgpr_write_b32 a144, 0                                // 000000005380: D3D94090 18000080
	v_mov_b32_e32 v142, 0                                      // 000000005388: 7F1C0280
	v_accvgpr_write_b32 a145, 0                                // 00000000538C: D3D94091 18000080
	v_mov_b32_e32 v143, 0                                      // 000000005394: 7F1E0280
	v_accvgpr_write_b32 a146, 0                                // 000000005398: D3D94092 18000080
	v_mov_b32_e32 v144, 0                                      // 0000000053A0: 7F200280
	v_accvgpr_write_b32 a147, 0                                // 0000000053A4: D3D94093 18000080
	v_mov_b32_e32 v145, 0                                      // 0000000053AC: 7F220280
	v_accvgpr_write_b32 a148, 0                                // 0000000053B0: D3D94094 18000080
	v_mov_b32_e32 v146, 0                                      // 0000000053B8: 7F240280
	v_accvgpr_write_b32 a149, 0                                // 0000000053BC: D3D94095 18000080
	v_mov_b32_e32 v147, 0                                      // 0000000053C4: 7F260280
	v_accvgpr_write_b32 a150, 0                                // 0000000053C8: D3D94096 18000080
	v_mov_b32_e32 v148, 0                                      // 0000000053D0: 7F280280
	v_accvgpr_write_b32 a151, 0                                // 0000000053D4: D3D94097 18000080
	v_mov_b32_e32 v149, 0                                      // 0000000053DC: 7F2A0280
	v_accvgpr_write_b32 a152, 0                                // 0000000053E0: D3D94098 18000080
	v_mov_b32_e32 v150, 0                                      // 0000000053E8: 7F2C0280
	v_accvgpr_write_b32 a153, 0                                // 0000000053EC: D3D94099 18000080
	v_mov_b32_e32 v151, 0                                      // 0000000053F4: 7F2E0280
	v_accvgpr_write_b32 a154, 0                                // 0000000053F8: D3D9409A 18000080
	v_mov_b32_e32 v152, 0                                      // 000000005400: 7F300280
	v_accvgpr_write_b32 a155, 0                                // 000000005404: D3D9409B 18000080
	v_mov_b32_e32 v153, 0                                      // 00000000540C: 7F320280
	v_accvgpr_write_b32 a156, 0                                // 000000005410: D3D9409C 18000080
	v_mov_b32_e32 v154, 0                                      // 000000005418: 7F340280
	v_accvgpr_write_b32 a157, 0                                // 00000000541C: D3D9409D 18000080
	v_mov_b32_e32 v155, 0                                      // 000000005424: 7F360280
	v_accvgpr_write_b32 a158, 0                                // 000000005428: D3D9409E 18000080
	v_mov_b32_e32 v156, 0                                      // 000000005430: 7F380280
	v_accvgpr_write_b32 a159, 0                                // 000000005434: D3D9409F 18000080
	v_mov_b32_e32 v157, 0                                      // 00000000543C: 7F3A0280
	v_accvgpr_write_b32 a160, 0                                // 000000005440: D3D940A0 18000080
	v_mov_b32_e32 v158, 0                                      // 000000005448: 7F3C0280
	v_accvgpr_write_b32 a161, 0                                // 00000000544C: D3D940A1 18000080
	v_mov_b32_e32 v159, 0                                      // 000000005454: 7F3E0280
	v_accvgpr_write_b32 a162, 0                                // 000000005458: D3D940A2 18000080
	v_mov_b32_e32 v160, 0                                      // 000000005460: 7F400280
	v_accvgpr_write_b32 a163, 0                                // 000000005464: D3D940A3 18000080
	v_mov_b32_e32 v161, 0                                      // 00000000546C: 7F420280
	v_accvgpr_write_b32 a164, 0                                // 000000005470: D3D940A4 18000080
	v_mov_b32_e32 v162, 0                                      // 000000005478: 7F440280
	v_accvgpr_write_b32 a165, 0                                // 00000000547C: D3D940A5 18000080
	v_mov_b32_e32 v163, 0                                      // 000000005484: 7F460280
	v_accvgpr_write_b32 a166, 0                                // 000000005488: D3D940A6 18000080
	v_mov_b32_e32 v164, 0                                      // 000000005490: 7F480280
	v_accvgpr_write_b32 a167, 0                                // 000000005494: D3D940A7 18000080
	v_mov_b32_e32 v165, 0                                      // 00000000549C: 7F4A0280
	v_accvgpr_write_b32 a168, 0                                // 0000000054A0: D3D940A8 18000080
	v_mov_b32_e32 v166, 0                                      // 0000000054A8: 7F4C0280
	v_accvgpr_write_b32 a169, 0                                // 0000000054AC: D3D940A9 18000080
	v_mov_b32_e32 v167, 0                                      // 0000000054B4: 7F4E0280
	v_accvgpr_write_b32 a170, 0                                // 0000000054B8: D3D940AA 18000080
	v_mov_b32_e32 v168, 0                                      // 0000000054C0: 7F500280
	v_accvgpr_write_b32 a171, 0                                // 0000000054C4: D3D940AB 18000080
	v_mov_b32_e32 v169, 0                                      // 0000000054CC: 7F520280
	v_accvgpr_write_b32 a172, 0                                // 0000000054D0: D3D940AC 18000080
	v_mov_b32_e32 v170, 0                                      // 0000000054D8: 7F540280
	v_accvgpr_write_b32 a173, 0                                // 0000000054DC: D3D940AD 18000080
	v_mov_b32_e32 v171, 0                                      // 0000000054E4: 7F560280
	v_accvgpr_write_b32 a174, 0                                // 0000000054E8: D3D940AE 18000080
	v_mov_b32_e32 v172, 0                                      // 0000000054F0: 7F580280
	v_accvgpr_write_b32 a175, 0                                // 0000000054F4: D3D940AF 18000080
	v_mov_b32_e32 v173, 0                                      // 0000000054FC: 7F5A0280
	v_accvgpr_write_b32 a176, 0                                // 000000005500: D3D940B0 18000080
	v_mov_b32_e32 v174, 0                                      // 000000005508: 7F5C0280
	v_accvgpr_write_b32 a177, 0                                // 00000000550C: D3D940B1 18000080
	v_mov_b32_e32 v175, 0                                      // 000000005514: 7F5E0280
	v_accvgpr_write_b32 a178, 0                                // 000000005518: D3D940B2 18000080
	v_mov_b32_e32 v176, 0                                      // 000000005520: 7F600280
	v_accvgpr_write_b32 a179, 0                                // 000000005524: D3D940B3 18000080
	v_mov_b32_e32 v177, 0                                      // 00000000552C: 7F620280
	v_accvgpr_write_b32 a180, 0                                // 000000005530: D3D940B4 18000080
	v_mov_b32_e32 v178, 0                                      // 000000005538: 7F640280
	v_accvgpr_write_b32 a181, 0                                // 00000000553C: D3D940B5 18000080
	v_mov_b32_e32 v179, 0                                      // 000000005544: 7F660280
	v_accvgpr_write_b32 a182, 0                                // 000000005548: D3D940B6 18000080
	v_mov_b32_e32 v180, 0                                      // 000000005550: 7F680280
	v_accvgpr_write_b32 a183, 0                                // 000000005554: D3D940B7 18000080
	v_mov_b32_e32 v181, 0                                      // 00000000555C: 7F6A0280
	v_accvgpr_write_b32 a184, 0                                // 000000005560: D3D940B8 18000080
	v_mov_b32_e32 v182, 0                                      // 000000005568: 7F6C0280
	v_accvgpr_write_b32 a185, 0                                // 00000000556C: D3D940B9 18000080
	v_mov_b32_e32 v183, 0                                      // 000000005574: 7F6E0280
	v_accvgpr_write_b32 a186, 0                                // 000000005578: D3D940BA 18000080
	v_mov_b32_e32 v184, 0                                      // 000000005580: 7F700280
	v_accvgpr_write_b32 a187, 0                                // 000000005584: D3D940BB 18000080
	v_mov_b32_e32 v185, 0                                      // 00000000558C: 7F720280
	v_accvgpr_write_b32 a188, 0                                // 000000005590: D3D940BC 18000080
	v_mov_b32_e32 v186, 0                                      // 000000005598: 7F740280
	v_accvgpr_write_b32 a189, 0                                // 00000000559C: D3D940BD 18000080
	v_mov_b32_e32 v187, 0                                      // 0000000055A4: 7F760280
	v_accvgpr_write_b32 a190, 0                                // 0000000055A8: D3D940BE 18000080
	v_mov_b32_e32 v188, 0                                      // 0000000055B0: 7F780280
	v_accvgpr_write_b32 a191, 0                                // 0000000055B4: D3D940BF 18000080
	v_mov_b32_e32 v189, 0                                      // 0000000055BC: 7F7A0280
	v_accvgpr_write_b32 a192, 0                                // 0000000055C0: D3D940C0 18000080
	v_mov_b32_e32 v190, 0                                      // 0000000055C8: 7F7C0280
	v_accvgpr_write_b32 a193, 0                                // 0000000055CC: D3D940C1 18000080
	v_mov_b32_e32 v191, 0                                      // 0000000055D4: 7F7E0280
	v_accvgpr_write_b32 a194, 0                                // 0000000055D8: D3D940C2 18000080
	v_mov_b32_e32 v192, 0                                      // 0000000055E0: 7F800280
	v_accvgpr_write_b32 a195, 0                                // 0000000055E4: D3D940C3 18000080
	v_mov_b32_e32 v193, 0                                      // 0000000055EC: 7F820280
	v_accvgpr_write_b32 a196, 0                                // 0000000055F0: D3D940C4 18000080
	v_mov_b32_e32 v194, 0                                      // 0000000055F8: 7F840280
	v_accvgpr_write_b32 a197, 0                                // 0000000055FC: D3D940C5 18000080
	v_mov_b32_e32 v195, 0                                      // 000000005604: 7F860280
	v_accvgpr_write_b32 a198, 0                                // 000000005608: D3D940C6 18000080
	v_mov_b32_e32 v196, 0                                      // 000000005610: 7F880280
	v_accvgpr_write_b32 a199, 0                                // 000000005614: D3D940C7 18000080
	v_mov_b32_e32 v197, 0                                      // 00000000561C: 7F8A0280
	v_accvgpr_write_b32 a200, 0                                // 000000005620: D3D940C8 18000080
	v_mov_b32_e32 v198, 0                                      // 000000005628: 7F8C0280
	v_accvgpr_write_b32 a201, 0                                // 00000000562C: D3D940C9 18000080
	v_mov_b32_e32 v199, 0                                      // 000000005634: 7F8E0280
	v_accvgpr_write_b32 a202, 0                                // 000000005638: D3D940CA 18000080
	v_mov_b32_e32 v200, 0                                      // 000000005640: 7F900280
	v_accvgpr_write_b32 a203, 0                                // 000000005644: D3D940CB 18000080
	v_mov_b32_e32 v201, 0                                      // 00000000564C: 7F920280
	v_accvgpr_write_b32 a204, 0                                // 000000005650: D3D940CC 18000080
	v_mov_b32_e32 v202, 0                                      // 000000005658: 7F940280
	v_accvgpr_write_b32 a205, 0                                // 00000000565C: D3D940CD 18000080
	v_mov_b32_e32 v203, 0                                      // 000000005664: 7F960280
	v_accvgpr_write_b32 a206, 0                                // 000000005668: D3D940CE 18000080
	v_mov_b32_e32 v204, 0                                      // 000000005670: 7F980280
	v_accvgpr_write_b32 a207, 0                                // 000000005674: D3D940CF 18000080
	v_mov_b32_e32 v205, 0                                      // 00000000567C: 7F9A0280
	v_accvgpr_write_b32 a208, 0                                // 000000005680: D3D940D0 18000080
	v_mov_b32_e32 v206, 0                                      // 000000005688: 7F9C0280
	v_accvgpr_write_b32 a209, 0                                // 00000000568C: D3D940D1 18000080
	v_mov_b32_e32 v207, 0                                      // 000000005694: 7F9E0280
	v_accvgpr_write_b32 a210, 0                                // 000000005698: D3D940D2 18000080
	v_mov_b32_e32 v208, 0                                      // 0000000056A0: 7FA00280
	v_accvgpr_write_b32 a211, 0                                // 0000000056A4: D3D940D3 18000080
	v_mov_b32_e32 v209, 0                                      // 0000000056AC: 7FA20280
	v_accvgpr_write_b32 a212, 0                                // 0000000056B0: D3D940D4 18000080
	v_mov_b32_e32 v210, 0                                      // 0000000056B8: 7FA40280
	v_accvgpr_write_b32 a213, 0                                // 0000000056BC: D3D940D5 18000080
	v_mov_b32_e32 v211, 0                                      // 0000000056C4: 7FA60280
	v_accvgpr_write_b32 a214, 0                                // 0000000056C8: D3D940D6 18000080
	v_mov_b32_e32 v212, 0                                      // 0000000056D0: 7FA80280
	v_accvgpr_write_b32 a215, 0                                // 0000000056D4: D3D940D7 18000080
	v_mov_b32_e32 v213, 0                                      // 0000000056DC: 7FAA0280
	v_accvgpr_write_b32 a216, 0                                // 0000000056E0: D3D940D8 18000080
	v_mov_b32_e32 v214, 0                                      // 0000000056E8: 7FAC0280
	v_accvgpr_write_b32 a217, 0                                // 0000000056EC: D3D940D9 18000080
	v_mov_b32_e32 v215, 0                                      // 0000000056F4: 7FAE0280
	v_accvgpr_write_b32 a218, 0                                // 0000000056F8: D3D940DA 18000080
	v_mov_b32_e32 v216, 0                                      // 000000005700: 7FB00280
	v_accvgpr_write_b32 a219, 0                                // 000000005704: D3D940DB 18000080
	v_mov_b32_e32 v217, 0                                      // 00000000570C: 7FB20280
	v_accvgpr_write_b32 a220, 0                                // 000000005710: D3D940DC 18000080
	v_mov_b32_e32 v218, 0                                      // 000000005718: 7FB40280
	v_accvgpr_write_b32 a221, 0                                // 00000000571C: D3D940DD 18000080
	v_mov_b32_e32 v219, 0                                      // 000000005724: 7FB60280
	v_accvgpr_write_b32 a222, 0                                // 000000005728: D3D940DE 18000080
	v_mov_b32_e32 v220, 0                                      // 000000005730: 7FB80280
	v_accvgpr_write_b32 a223, 0                                // 000000005734: D3D940DF 18000080
	v_mov_b32_e32 v221, 0                                      // 00000000573C: 7FBA0280
	v_accvgpr_write_b32 a224, 0                                // 000000005740: D3D940E0 18000080
	v_mov_b32_e32 v222, 0                                      // 000000005748: 7FBC0280
	v_accvgpr_write_b32 a225, 0                                // 00000000574C: D3D940E1 18000080
	v_mov_b32_e32 v223, 0                                      // 000000005754: 7FBE0280
	v_accvgpr_write_b32 a226, 0                                // 000000005758: D3D940E2 18000080
	v_mov_b32_e32 v224, 0                                      // 000000005760: 7FC00280
	v_accvgpr_write_b32 a227, 0                                // 000000005764: D3D940E3 18000080
	v_mov_b32_e32 v225, 0                                      // 00000000576C: 7FC20280
	v_accvgpr_write_b32 a228, 0                                // 000000005770: D3D940E4 18000080
	v_mov_b32_e32 v226, 0                                      // 000000005778: 7FC40280
	v_accvgpr_write_b32 a229, 0                                // 00000000577C: D3D940E5 18000080
	v_mov_b32_e32 v227, 0                                      // 000000005784: 7FC60280
	v_accvgpr_write_b32 a230, 0                                // 000000005788: D3D940E6 18000080
	v_mov_b32_e32 v228, 0                                      // 000000005790: 7FC80280
	v_accvgpr_write_b32 a231, 0                                // 000000005794: D3D940E7 18000080
	v_mov_b32_e32 v229, 0                                      // 00000000579C: 7FCA0280
	v_accvgpr_write_b32 a232, 0                                // 0000000057A0: D3D940E8 18000080
	v_mov_b32_e32 v230, 0                                      // 0000000057A8: 7FCC0280
	v_accvgpr_write_b32 a233, 0                                // 0000000057AC: D3D940E9 18000080
	v_mov_b32_e32 v231, 0                                      // 0000000057B4: 7FCE0280
	v_accvgpr_write_b32 a234, 0                                // 0000000057B8: D3D940EA 18000080
	v_mov_b32_e32 v232, 0                                      // 0000000057C0: 7FD00280
	v_accvgpr_write_b32 a235, 0                                // 0000000057C4: D3D940EB 18000080
	v_mov_b32_e32 v233, 0                                      // 0000000057CC: 7FD20280
	v_accvgpr_write_b32 a236, 0                                // 0000000057D0: D3D940EC 18000080
	v_mov_b32_e32 v234, 0                                      // 0000000057D8: 7FD40280
	v_accvgpr_write_b32 a237, 0                                // 0000000057DC: D3D940ED 18000080
	v_mov_b32_e32 v235, 0                                      // 0000000057E4: 7FD60280
	v_accvgpr_write_b32 a238, 0                                // 0000000057E8: D3D940EE 18000080
	v_mov_b32_e32 v236, 0                                      // 0000000057F0: 7FD80280
	v_accvgpr_write_b32 a239, 0                                // 0000000057F4: D3D940EF 18000080
	v_mov_b32_e32 v237, 0                                      // 0000000057FC: 7FDA0280
	v_accvgpr_write_b32 a240, 0                                // 000000005800: D3D940F0 18000080
	v_mov_b32_e32 v238, 0                                      // 000000005808: 7FDC0280
	v_accvgpr_write_b32 a241, 0                                // 00000000580C: D3D940F1 18000080
	v_mov_b32_e32 v239, 0                                      // 000000005814: 7FDE0280
	v_accvgpr_write_b32 a242, 0                                // 000000005818: D3D940F2 18000080
	v_mov_b32_e32 v240, 0                                      // 000000005820: 7FE00280
	v_accvgpr_write_b32 a243, 0                                // 000000005824: D3D940F3 18000080
	v_mov_b32_e32 v241, 0                                      // 00000000582C: 7FE20280
	v_accvgpr_write_b32 a244, 0                                // 000000005830: D3D940F4 18000080
	v_mov_b32_e32 v242, 0                                      // 000000005838: 7FE40280
	v_accvgpr_write_b32 a245, 0                                // 00000000583C: D3D940F5 18000080
	v_mov_b32_e32 v243, 0                                      // 000000005844: 7FE60280
	v_accvgpr_write_b32 a246, 0                                // 000000005848: D3D940F6 18000080
	v_mov_b32_e32 v244, 0                                      // 000000005850: 7FE80280
	v_accvgpr_write_b32 a247, 0                                // 000000005854: D3D940F7 18000080
	v_mov_b32_e32 v245, 0                                      // 00000000585C: 7FEA0280
	v_accvgpr_write_b32 a248, 0                                // 000000005860: D3D940F8 18000080
	v_mov_b32_e32 v246, 0                                      // 000000005868: 7FEC0280
	v_accvgpr_write_b32 a249, 0                                // 00000000586C: D3D940F9 18000080
	v_mov_b32_e32 v247, 0                                      // 000000005874: 7FEE0280
	v_accvgpr_write_b32 a250, 0                                // 000000005878: D3D940FA 18000080
	v_mov_b32_e32 v248, 0                                      // 000000005880: 7FF00280
	v_accvgpr_write_b32 a251, 0                                // 000000005884: D3D940FB 18000080
	v_mov_b32_e32 v249, 0                                      // 00000000588C: 7FF20280
	v_accvgpr_write_b32 a252, 0                                // 000000005890: D3D940FC 18000080
	v_mov_b32_e32 v250, 0                                      // 000000005898: 7FF40280
	v_accvgpr_write_b32 a253, 0                                // 00000000589C: D3D940FD 18000080
	v_mov_b32_e32 v251, 0                                      // 0000000058A4: 7FF60280
	v_accvgpr_write_b32 a254, 0                                // 0000000058A8: D3D940FE 18000080
	v_mov_b32_e32 v252, 0                                      // 0000000058B0: 7FF80280
	v_accvgpr_write_b32 a255, 0                                // 0000000058B4: D3D940FF 18000080
	v_mov_b32_e32 v253, 0                                      // 0000000058BC: 7FFA0280
	v_mov_b32_e32 v108, 0                                      // 0000000058C0: 7ED80280
	v_mov_b32_e32 v109, 0                                      // 0000000058C4: 7EDA0280
	v_mov_b32_e32 v110, 0                                      // 0000000058C8: 7EDC0280
	v_mov_b32_e32 v111, 0                                      // 0000000058CC: 7EDE0280
	v_mov_b32_e32 v112, 0                                      // 0000000058D0: 7EE00280
	v_mov_b32_e32 v113, 0                                      // 0000000058D4: 7EE20280
	v_mov_b32_e32 v114, 0                                      // 0000000058D8: 7EE40280
	v_mov_b32_e32 v115, 0                                      // 0000000058DC: 7EE60280
	s_waitcnt vmcnt(0) lgkmcnt(0)                              // 0000000058E0: BF8C0070
	s_barrier                                                  // 0000000058E4: BF8A0000
	s_mov_b32 m0, s84                                          // 0000000058E8: BEFC0054
	buffer_load_dwordx4 v1, s[8:11], 0 idxen lds               // 0000000058EC: E05D2000 80020001
	s_mov_b32 m0, s88                                          // 0000000058F4: BEFC0058
	buffer_load_dwordx4 v254, s[20:23], 0 idxen lds            // 0000000058F8: E05D2000 800500FE
	s_mov_b32 m0, s80                                          // 000000005900: BEFC0050
	buffer_load_dword v8, s[24:27], 0 idxen lds                // 000000005904: E0512000 80060008
	v_mul_f32_e32 v104, s48, v104                              // 00000000590C: 0AD0D030
	v_add_u32_e32 v1, s68, v1                                  // 000000005910: 68020244
	v_add_u32_e32 v254, s98, v254                              // 000000005914: 69FDFC62
	v_add_u32_e32 v8, s69, v8                                  // 000000005918: 68101045
	v_mov_b32_dpp v107, v104 quad_perm:[3,3,3,3] row_mask:0xf bank_mask:0xf// 00000000591C: 7ED602FA FF00FF68
	v_mov_b32_dpp v106, v104 quad_perm:[2,2,2,2] row_mask:0xf bank_mask:0xf// 000000005924: 7ED402FA FF00AA68
	v_mov_b32_dpp v105, v104 quad_perm:[1,1,1,1] row_mask:0xf bank_mask:0xf// 00000000592C: 7ED202FA FF005568
	v_mov_b32_dpp v104, v104 quad_perm:[0,0,0,0] row_mask:0xf bank_mask:0xf// 000000005934: 7ED002FA FF000068
	s_cmp_lt_i32 s46, 2                                        // 00000000593C: BF04822E
	s_cbranch_scc0 label_12CF                                  // 000000005940: BF840C6A
	s_nop 0                                                    // 000000005944: BF800000
	s_nop 0                                                    // 000000005948: BF800000

000000000000594c <label_0653>:
	s_waitcnt lgkmcnt(2)                                       // 00000000594C: BF8CC27F
	v_mfma_f32_16x16x32_f16 v[24:27], a[112:115], a[0:3], 0    // 000000005950: D3D40018 1A020170
	ds_read_b128 a[32:35], v14 offset:32768                    // 000000005958: DBFE8000 2000000E
	ds_read_b128 a[36:39], v14 offset:33792                    // 000000005960: DBFE8400 2400000E
	v_mfma_f32_16x16x32_f16 v[24:27], a[116:119], a[4:7], v[24:27]// 000000005968: D3D40018 1C620974
	v_add_u32_e32 v4, s66, v4                                  // 000000005970: 68080842
	v_add_u32_e32 v5, s66, v5                                  // 000000005974: 680A0A42
	v_add_u32_e32 v6, s66, v6                                  // 000000005978: 680C0C42
	v_add_u32_e32 v7, s66, v7                                  // 00000000597C: 680E0E42
	v_mfma_f32_16x16x32_f16 v[24:27], a[120:123], a[8:11], v[24:27]// 000000005980: D3D40018 1C621178
	ds_read_b128 a[40:43], v14 offset:34816                    // 000000005988: DBFE8800 2800000E
	ds_read_b128 a[44:47], v14 offset:35840                    // 000000005990: DBFE8C00 2C00000E
	v_mfma_f32_16x16x32_f16 v[24:27], a[124:127], a[12:15], v[24:27]// 000000005998: D3D40018 1C62197C
	v_mul_f32_e32 v112, s47, v112                              // 0000000059A0: 0AE0E02F
	v_mul_f32_e32 v113, s47, v113                              // 0000000059A4: 0AE2E22F
	v_mfma_f32_16x16x32_f16 v[28:31], a[112:115], a[16:19], 0  // 0000000059A8: D3D4001C 1A022170
	ds_read_b128 v[56:59], v14 offset:49152                    // 0000000059B0: D9FEC000 3800000E
	ds_read_b128 v[60:63], v14 offset:50176                    // 0000000059B8: D9FEC400 3C00000E
	v_mfma_f32_16x16x32_f16 v[28:31], a[116:119], a[20:23], v[28:31]// 0000000059C0: D3D4001C 1C722974
	v_mul_f32_e32 v114, s47, v114                              // 0000000059C8: 0AE4E42F
	v_mul_f32_e32 v115, s47, v115                              // 0000000059CC: 0AE6E62F
	s_waitcnt lgkmcnt(6)                                       // 0000000059D0: BF8CC67F
	v_mfma_f32_16x16x32_f16 v[28:31], a[120:123], a[24:27], v[28:31]// 0000000059D4: D3D4001C 1C723178
	ds_read_b128 v[64:67], v14 offset:51200                    // 0000000059DC: D9FEC800 4000000E
	ds_read_b128 v[68:71], v14 offset:52224                    // 0000000059E4: D9FECC00 4400000E
	v_mfma_f32_16x16x32_f16 v[28:31], a[124:127], a[28:31], v[28:31]// 0000000059EC: D3D4001C 1C72397C
	v_fma_f32 v24, v24, s57, -v104                             // 0000000059F4: D1CB0018 85A07318
	v_fma_f32 v25, v25, s57, -v105                             // 0000000059FC: D1CB0019 85A47319
	s_waitcnt lgkmcnt(6)                                       // 000000005A04: BF8CC67F
	v_mfma_f32_16x16x32_f16 v[32:35], a[112:115], a[32:35], 0  // 000000005A08: D3D40020 1A024170
	ds_read_b128 v[72:75], v9 offset:16384                     // 000000005A10: D9FE4000 48000009
	ds_read_b128 v[76:79], v9 offset:17408                     // 000000005A18: D9FE4400 4C000009
	v_mfma_f32_16x16x32_f16 v[32:35], a[116:119], a[36:39], v[32:35]// 000000005A20: D3D40020 1C824974
	v_fma_f32 v26, v26, s57, -v106                             // 000000005A28: D1CB001A 85A8731A
	v_fma_f32 v27, v27, s57, -v107                             // 000000005A30: D1CB001B 85AC731B
	buffer_atomic_add_f32 v108, v4, s[32:35], 0 offen          // 000000005A38: E1341000 80086C04
	s_waitcnt lgkmcnt(6)                                       // 000000005A40: BF8CC67F
	v_mfma_f32_16x16x32_f16 v[32:35], a[120:123], a[40:43], v[32:35]// 000000005A44: D3D40020 1C825178
	ds_read_b128 v[80:83], v9 offset:18432                     // 000000005A4C: D9FE4800 50000009
	ds_read_b128 v[84:87], v9 offset:19456                     // 000000005A54: D9FE4C00 54000009
	v_mfma_f32_16x16x32_f16 v[32:35], a[124:127], a[44:47], v[32:35]// 000000005A5C: D3D40020 1C82597C
	v_fma_f32 v28, v28, s57, -v104                             // 000000005A64: D1CB001C 85A0731C
	v_fma_f32 v29, v29, s57, -v105                             // 000000005A6C: D1CB001D 85A4731D
	s_waitcnt lgkmcnt(6)                                       // 000000005A74: BF8CC67F
	v_mfma_f32_16x16x32_f16 v[36:39], a[112:115], v[56:59], 0  // 000000005A78: D3D40024 0A027170
	ds_read_b64_tr_b16 v[88:89], v10 offset:16384              // 000000005A80: D9C64000 5800000A
	ds_read_b64_tr_b16 v[90:91], v10 offset:16640              // 000000005A88: D9C64100 5A00000A
	ds_read_b64_tr_b16 v[92:93], v10 offset:17408              // 000000005A90: D9C64400 5C00000A
	ds_read_b64_tr_b16 v[94:95], v10 offset:17664              // 000000005A98: D9C64500 5E00000A
	v_mfma_f32_16x16x32_f16 v[36:39], a[116:119], v[60:63], v[36:39]// 000000005AA0: D3D40024 0C927974
	v_fma_f32 v30, v30, s57, -v106                             // 000000005AA8: D1CB001E 85A8731E
	v_fma_f32 v31, v31, s57, -v107                             // 000000005AB0: D1CB001F 85AC731F
	s_waitcnt lgkmcnt(8)                                       // 000000005AB8: BF8CC87F
	v_mfma_f32_16x16x32_f16 v[36:39], a[120:123], v[64:67], v[36:39]// 000000005ABC: D3D40024 0C928178
	ds_read_b64_tr_b16 v[96:97], v10 offset:18432              // 000000005AC4: D9C64800 6000000A
	ds_read_b64_tr_b16 v[98:99], v10 offset:18688              // 000000005ACC: D9C64900 6200000A
	ds_read_b64_tr_b16 v[100:101], v10 offset:19456            // 000000005AD4: D9C64C00 6400000A
	ds_read_b64_tr_b16 v[102:103], v10 offset:19712            // 000000005ADC: D9C64D00 6600000A
	v_mfma_f32_16x16x32_f16 v[36:39], a[124:127], v[68:71], v[36:39]// 000000005AE4: D3D40024 0C92897C
	v_fma_f32 v32, v32, s57, -v104                             // 000000005AEC: D1CB0020 85A07320
	v_fma_f32 v33, v33, s57, -v105                             // 000000005AF4: D1CB0021 85A47321
	v_fma_f32 v34, v34, s57, -v106                             // 000000005AFC: D1CB0022 85A87322
	v_fma_f32 v35, v35, s57, -v107                             // 000000005B04: D1CB0023 85AC7323
	buffer_atomic_add_f32 v109, v5, s[32:35], 0 offen          // 000000005B0C: E1341000 80086D05
	s_cmp_lt_i32 s74, 16                                       // 000000005B14: BF04904A
	s_cbranch_scc0 label_0761                                  // 000000005B18: BF84009A
	s_mov_b32 s60, 0xffe0fffe                                  // 000000005B1C: BEBC00FF FFE0FFFE
	s_mov_b32 s61, 0xe000fe00                                  // 000000005B24: BEBD00FF E000FE00
	s_nop 0                                                    // 000000005B2C: BF800000
	s_add_u32 s62, 0, s46                                      // 000000005B30: 803E2E80
	s_cmp_lt_i32 s74, s62                                      // 000000005B34: BF043E4A
	s_cbranch_scc1 label_06FC                                  // 000000005B38: BF85002D
	s_cmp_eq_i32 s74, s62                                      // 000000005B3C: BF003E4A
	s_cbranch_scc1 label_06E1                                  // 000000005B40: BF850010
	s_add_u32 s62, 4, s46                                      // 000000005B44: 803E2E84
	s_cmp_lt_i32 s74, s62                                      // 000000005B48: BF043E4A
	s_cbranch_scc1 label_071C                                  // 000000005B4C: BF850048
	s_cmp_eq_i32 s74, s62                                      // 000000005B50: BF003E4A
	s_cbranch_scc1 label_0701                                  // 000000005B54: BF85002B
	s_add_u32 s62, 8, s46                                      // 000000005B58: 803E2E88
	s_cmp_lt_i32 s74, s62                                      // 000000005B5C: BF043E4A
	s_cbranch_scc1 label_073C                                  // 000000005B60: BF850063
	s_cmp_eq_i32 s74, s62                                      // 000000005B64: BF003E4A
	s_cbranch_scc1 label_0721                                  // 000000005B68: BF850046
	s_add_u32 s62, 12, s46                                     // 000000005B6C: 803E2E8C
	s_cmp_lt_i32 s74, s62                                      // 000000005B70: BF043E4A
	s_cbranch_scc1 label_075C                                  // 000000005B74: BF85007E
	s_cmp_eq_i32 s74, s62                                      // 000000005B78: BF003E4A
	s_cbranch_scc1 label_0741                                  // 000000005B7C: BF850061
	s_branch label_0761                                        // 000000005B80: BF820080

0000000000005b84 <label_06E1>:
	v_cndmask_b32_e64 v24, v24, v125, s[60:61]                 // 000000005B84: D1000018 00F2FB18
	s_lshl_b32 s60, s60, 1                                     // 000000005B8C: 8E3C813C
	s_lshl_b32 s61, s61, 1                                     // 000000005B90: 8E3D813D
	s_and_b32 s60, 0xfffeffff, s60                             // 000000005B94: 863C3CFF FFFEFFFF
	s_and_b32 s61, 0xfffeffff, s61                             // 000000005B9C: 863D3DFF FFFEFFFF
	v_cndmask_b32_e64 v25, v25, v125, s[60:61]                 // 000000005BA4: D1000019 00F2FB19
	s_lshl_b32 s60, s60, 1                                     // 000000005BAC: 8E3C813C
	s_lshl_b32 s61, s61, 1                                     // 000000005BB0: 8E3D813D
	s_and_b32 s60, 0xfffeffff, s60                             // 000000005BB4: 863C3CFF FFFEFFFF
	s_and_b32 s61, 0xfffeffff, s61                             // 000000005BBC: 863D3DFF FFFEFFFF
	v_cndmask_b32_e64 v26, v26, v125, s[60:61]                 // 000000005BC4: D100001A 00F2FB1A
	s_lshl_b32 s60, s60, 1                                     // 000000005BCC: 8E3C813C
	s_lshl_b32 s61, s61, 1                                     // 000000005BD0: 8E3D813D
	s_and_b32 s60, 0xfffeffff, s60                             // 000000005BD4: 863C3CFF FFFEFFFF
	s_and_b32 s61, 0xfffeffff, s61                             // 000000005BDC: 863D3DFF FFFEFFFF
	v_cndmask_b32_e64 v27, v27, v125, s[60:61]                 // 000000005BE4: D100001B 00F2FB1B
	s_branch label_071C                                        // 000000005BEC: BF820020

0000000000005bf0 <label_06FC>:
	v_mov_b32_e32 v24, v125                                    // 000000005BF0: 7E30037D
	v_mov_b32_e32 v25, v125                                    // 000000005BF4: 7E32037D
	v_mov_b32_e32 v26, v125                                    // 000000005BF8: 7E34037D
	v_mov_b32_e32 v27, v125                                    // 000000005BFC: 7E36037D
	s_branch label_071C                                        // 000000005C00: BF82001B

0000000000005c04 <label_0701>:
	v_cndmask_b32_e64 v28, v28, v125, s[60:61]                 // 000000005C04: D100001C 00F2FB1C
	s_lshl_b32 s60, s60, 1                                     // 000000005C0C: 8E3C813C
	s_lshl_b32 s61, s61, 1                                     // 000000005C10: 8E3D813D
	s_and_b32 s60, 0xfffeffff, s60                             // 000000005C14: 863C3CFF FFFEFFFF
	s_and_b32 s61, 0xfffeffff, s61                             // 000000005C1C: 863D3DFF FFFEFFFF
	v_cndmask_b32_e64 v29, v29, v125, s[60:61]                 // 000000005C24: D100001D 00F2FB1D
	s_lshl_b32 s60, s60, 1                                     // 000000005C2C: 8E3C813C
	s_lshl_b32 s61, s61, 1                                     // 000000005C30: 8E3D813D
	s_and_b32 s60, 0xfffeffff, s60                             // 000000005C34: 863C3CFF FFFEFFFF
	s_and_b32 s61, 0xfffeffff, s61                             // 000000005C3C: 863D3DFF FFFEFFFF
	v_cndmask_b32_e64 v30, v30, v125, s[60:61]                 // 000000005C44: D100001E 00F2FB1E
	s_lshl_b32 s60, s60, 1                                     // 000000005C4C: 8E3C813C
	s_lshl_b32 s61, s61, 1                                     // 000000005C50: 8E3D813D
	s_and_b32 s60, 0xfffeffff, s60                             // 000000005C54: 863C3CFF FFFEFFFF
	s_and_b32 s61, 0xfffeffff, s61                             // 000000005C5C: 863D3DFF FFFEFFFF
	v_cndmask_b32_e64 v31, v31, v125, s[60:61]                 // 000000005C64: D100001F 00F2FB1F
	s_branch label_073C                                        // 000000005C6C: BF820020

0000000000005c70 <label_071C>:
	v_mov_b32_e32 v28, v125                                    // 000000005C70: 7E38037D
	v_mov_b32_e32 v29, v125                                    // 000000005C74: 7E3A037D
	v_mov_b32_e32 v30, v125                                    // 000000005C78: 7E3C037D
	v_mov_b32_e32 v31, v125                                    // 000000005C7C: 7E3E037D
	s_branch label_073C                                        // 000000005C80: BF82001B

0000000000005c84 <label_0721>:
	v_cndmask_b32_e64 v32, v32, v125, s[60:61]                 // 000000005C84: D1000020 00F2FB20
	s_lshl_b32 s60, s60, 1                                     // 000000005C8C: 8E3C813C
	s_lshl_b32 s61, s61, 1                                     // 000000005C90: 8E3D813D
	s_and_b32 s60, 0xfffeffff, s60                             // 000000005C94: 863C3CFF FFFEFFFF
	s_and_b32 s61, 0xfffeffff, s61                             // 000000005C9C: 863D3DFF FFFEFFFF
	v_cndmask_b32_e64 v33, v33, v125, s[60:61]                 // 000000005CA4: D1000021 00F2FB21
	s_lshl_b32 s60, s60, 1                                     // 000000005CAC: 8E3C813C
	s_lshl_b32 s61, s61, 1                                     // 000000005CB0: 8E3D813D
	s_and_b32 s60, 0xfffeffff, s60                             // 000000005CB4: 863C3CFF FFFEFFFF
	s_and_b32 s61, 0xfffeffff, s61                             // 000000005CBC: 863D3DFF FFFEFFFF
	v_cndmask_b32_e64 v34, v34, v125, s[60:61]                 // 000000005CC4: D1000022 00F2FB22
	s_lshl_b32 s60, s60, 1                                     // 000000005CCC: 8E3C813C
	s_lshl_b32 s61, s61, 1                                     // 000000005CD0: 8E3D813D
	s_and_b32 s60, 0xfffeffff, s60                             // 000000005CD4: 863C3CFF FFFEFFFF
	s_and_b32 s61, 0xfffeffff, s61                             // 000000005CDC: 863D3DFF FFFEFFFF
	v_cndmask_b32_e64 v35, v35, v125, s[60:61]                 // 000000005CE4: D1000023 00F2FB23
	s_branch label_075C                                        // 000000005CEC: BF820020

0000000000005cf0 <label_073C>:
	v_mov_b32_e32 v32, v125                                    // 000000005CF0: 7E40037D
	v_mov_b32_e32 v33, v125                                    // 000000005CF4: 7E42037D
	v_mov_b32_e32 v34, v125                                    // 000000005CF8: 7E44037D
	v_mov_b32_e32 v35, v125                                    // 000000005CFC: 7E46037D
	s_branch label_075C                                        // 000000005D00: BF82001B

0000000000005d04 <label_0741>:
	v_cndmask_b32_e64 v36, v36, v125, s[60:61]                 // 000000005D04: D1000024 00F2FB24
	s_lshl_b32 s60, s60, 1                                     // 000000005D0C: 8E3C813C
	s_lshl_b32 s61, s61, 1                                     // 000000005D10: 8E3D813D
	s_and_b32 s60, 0xfffeffff, s60                             // 000000005D14: 863C3CFF FFFEFFFF
	s_and_b32 s61, 0xfffeffff, s61                             // 000000005D1C: 863D3DFF FFFEFFFF
	v_cndmask_b32_e64 v37, v37, v125, s[60:61]                 // 000000005D24: D1000025 00F2FB25
	s_lshl_b32 s60, s60, 1                                     // 000000005D2C: 8E3C813C
	s_lshl_b32 s61, s61, 1                                     // 000000005D30: 8E3D813D
	s_and_b32 s60, 0xfffeffff, s60                             // 000000005D34: 863C3CFF FFFEFFFF
	s_and_b32 s61, 0xfffeffff, s61                             // 000000005D3C: 863D3DFF FFFEFFFF
	v_cndmask_b32_e64 v38, v38, v125, s[60:61]                 // 000000005D44: D1000026 00F2FB26
	s_lshl_b32 s60, s60, 1                                     // 000000005D4C: 8E3C813C
	s_lshl_b32 s61, s61, 1                                     // 000000005D50: 8E3D813D
	s_and_b32 s60, 0xfffeffff, s60                             // 000000005D54: 863C3CFF FFFEFFFF
	s_and_b32 s61, 0xfffeffff, s61                             // 000000005D5C: 863D3DFF FFFEFFFF
	v_cndmask_b32_e64 v39, v39, v125, s[60:61]                 // 000000005D64: D1000027 00F2FB27
	s_branch label_0761                                        // 000000005D6C: BF820005

0000000000005d70 <label_075C>:
	v_mov_b32_e32 v36, v125                                    // 000000005D70: 7E48037D
	v_mov_b32_e32 v37, v125                                    // 000000005D74: 7E4A037D
	v_mov_b32_e32 v38, v125                                    // 000000005D78: 7E4C037D
	v_mov_b32_e32 v39, v125                                    // 000000005D7C: 7E4E037D
	s_branch label_0761                                        // 000000005D80: BF820000

0000000000005d84 <label_0761>:
	s_cmp_lt_i32 s99, 0x100                                    // 000000005D84: BF04FF63 00000100
	s_cbranch_scc0 label_07D2                                  // 000000005D8C: BF840069
	s_cmp_le_i32 s99, 64                                       // 000000005D90: BF05C063
	s_cbranch_scc1 label_0770                                  // 000000005D94: BF85000A
	s_cmp_le_i32 s99, 0x80                                     // 000000005D98: BF05FF63 00000080
	s_cbranch_scc1 label_0788                                  // 000000005DA0: BF85001A
	s_cmp_lt_i32 s99, 0xc0                                     // 000000005DA4: BF04FF63 000000C0
	s_cbranch_scc1 label_07A0                                  // 000000005DAC: BF85002F
	s_cmp_lt_i32 s99, 0x100                                    // 000000005DB0: BF04FF63 00000100
	s_cbranch_scc1 label_07B9                                  // 000000005DB8: BF850045
	s_branch label_07D2                                        // 000000005DBC: BF82005D

0000000000005dc0 <label_0770>:
	s_mov_b32 s60, 0                                           // 000000005DC0: BEBC0080
	v_and_b32_e32 v20, 15, v0                                  // 000000005DC4: 2628008F
	v_add_u32_e64 v20, v20, s60                                // 000000005DC8: D1340014 00007914
	v_mul_i32_i24_e64 v21, s46, 16                             // 000000005DD0: D1060015 0001202E
	v_add_u32_e32 v20, v20, v21                                // 000000005DD8: 68282B14
	v_cmp_lt_u32_e64 s[60:61], v20, s99                        // 000000005DDC: D0C9003C 0000C714
	s_nop 1                                                    // 000000005DE4: BF800001
	v_cndmask_b32_e64 v24, v125, v24, s[60:61]                 // 000000005DE8: D1000018 00F2317D
	v_cndmask_b32_e64 v25, v125, v25, s[60:61]                 // 000000005DF0: D1000019 00F2337D
	v_cndmask_b32_e64 v26, v125, v26, s[60:61]                 // 000000005DF8: D100001A 00F2357D
	v_cndmask_b32_e64 v27, v125, v27, s[60:61]                 // 000000005E00: D100001B 00F2377D
	s_branch label_079B                                        // 000000005E08: BF820013

0000000000005e0c <label_0788>:
	s_mov_b32 s60, 64                                          // 000000005E0C: BEBC00C0
	v_and_b32_e32 v20, 15, v0                                  // 000000005E10: 2628008F
	v_add_u32_e64 v20, v20, s60                                // 000000005E14: D1340014 00007914
	v_mul_i32_i24_e64 v21, s46, 16                             // 000000005E1C: D1060015 0001202E
	v_add_u32_e32 v20, v20, v21                                // 000000005E24: 68282B14
	v_cmp_lt_u32_e64 s[60:61], v20, s99                        // 000000005E28: D0C9003C 0000C714
	s_nop 1                                                    // 000000005E30: BF800001
	v_cndmask_b32_e64 v28, v125, v28, s[60:61]                 // 000000005E34: D100001C 00F2397D
	v_cndmask_b32_e64 v29, v125, v29, s[60:61]                 // 000000005E3C: D100001D 00F23B7D
	v_cndmask_b32_e64 v30, v125, v30, s[60:61]                 // 000000005E44: D100001E 00F23D7D
	v_cndmask_b32_e64 v31, v125, v31, s[60:61]                 // 000000005E4C: D100001F 00F23F7D
	s_branch label_07B4                                        // 000000005E54: BF820019

0000000000005e58 <label_079B>:
	v_mov_b32_e32 v28, v125                                    // 000000005E58: 7E38037D
	v_mov_b32_e32 v29, v125                                    // 000000005E5C: 7E3A037D
	v_mov_b32_e32 v30, v125                                    // 000000005E60: 7E3C037D
	v_mov_b32_e32 v31, v125                                    // 000000005E64: 7E3E037D
	s_branch label_07B4                                        // 000000005E68: BF820014

0000000000005e6c <label_07A0>:
	s_mov_b32 s60, 0x80                                        // 000000005E6C: BEBC00FF 00000080
	v_and_b32_e32 v20, 15, v0                                  // 000000005E74: 2628008F
	v_add_u32_e64 v20, v20, s60                                // 000000005E78: D1340014 00007914
	v_mul_i32_i24_e64 v21, s46, 16                             // 000000005E80: D1060015 0001202E
	v_add_u32_e32 v20, v20, v21                                // 000000005E88: 68282B14
	v_cmp_lt_u32_e64 s[60:61], v20, s99                        // 000000005E8C: D0C9003C 0000C714
	s_nop 1                                                    // 000000005E94: BF800001
	v_cndmask_b32_e64 v32, v125, v32, s[60:61]                 // 000000005E98: D1000020 00F2417D
	v_cndmask_b32_e64 v33, v125, v33, s[60:61]                 // 000000005EA0: D1000021 00F2437D
	v_cndmask_b32_e64 v34, v125, v34, s[60:61]                 // 000000005EA8: D1000022 00F2457D
	v_cndmask_b32_e64 v35, v125, v35, s[60:61]                 // 000000005EB0: D1000023 00F2477D
	s_branch label_07CD                                        // 000000005EB8: BF820019

0000000000005ebc <label_07B4>:
	v_mov_b32_e32 v32, v125                                    // 000000005EBC: 7E40037D
	v_mov_b32_e32 v33, v125                                    // 000000005EC0: 7E42037D
	v_mov_b32_e32 v34, v125                                    // 000000005EC4: 7E44037D
	v_mov_b32_e32 v35, v125                                    // 000000005EC8: 7E46037D
	s_branch label_07CD                                        // 000000005ECC: BF820014

0000000000005ed0 <label_07B9>:
	s_mov_b32 s60, 0xc0                                        // 000000005ED0: BEBC00FF 000000C0
	v_and_b32_e32 v20, 15, v0                                  // 000000005ED8: 2628008F
	v_add_u32_e64 v20, v20, s60                                // 000000005EDC: D1340014 00007914
	v_mul_i32_i24_e64 v21, s46, 16                             // 000000005EE4: D1060015 0001202E
	v_add_u32_e32 v20, v20, v21                                // 000000005EEC: 68282B14
	v_cmp_lt_u32_e64 s[60:61], v20, s99                        // 000000005EF0: D0C9003C 0000C714
	s_nop 1                                                    // 000000005EF8: BF800001
	v_cndmask_b32_e64 v36, v125, v36, s[60:61]                 // 000000005EFC: D1000024 00F2497D
	v_cndmask_b32_e64 v37, v125, v37, s[60:61]                 // 000000005F04: D1000025 00F24B7D
	v_cndmask_b32_e64 v38, v125, v38, s[60:61]                 // 000000005F0C: D1000026 00F24D7D
	v_cndmask_b32_e64 v39, v125, v39, s[60:61]                 // 000000005F14: D1000027 00F24F7D
	s_branch label_07D2                                        // 000000005F1C: BF820005

0000000000005f20 <label_07CD>:
	v_mov_b32_e32 v36, v125                                    // 000000005F20: 7E48037D
	v_mov_b32_e32 v37, v125                                    // 000000005F24: 7E4A037D
	v_mov_b32_e32 v38, v125                                    // 000000005F28: 7E4C037D
	v_mov_b32_e32 v39, v125                                    // 000000005F2C: 7E4E037D
	s_branch label_07D2                                        // 000000005F30: BF820000

0000000000005f34 <label_07D2>:
	s_addk_i32 s74, 0x1                                        // 000000005F34: B74A0001
	s_waitcnt lgkmcnt(8)                                       // 000000005F38: BF8CC87F
	v_mfma_f32_16x16x32_f16 v[56:59], v[72:75], a[48:51], 0    // 000000005F3C: D3D40038 12026148
	v_exp_f32_e32 v24, v24                                     // 000000005F44: 7E304118
	v_exp_f32_e32 v25, v25                                     // 000000005F48: 7E324119
	v_mfma_f32_16x16x32_f16 v[56:59], v[76:79], a[52:55], v[56:59]// 000000005F4C: D3D40038 14E2694C
	v_exp_f32_e32 v26, v26                                     // 000000005F54: 7E34411A
	v_exp_f32_e32 v27, v27                                     // 000000005F58: 7E36411B
	v_mfma_f32_16x16x32_f16 v[56:59], v[80:83], a[56:59], v[56:59]// 000000005F5C: D3D40038 14E27150
	ds_read_b64_tr_b16 a[112:113], v10                         // 000000005F64: DBC60000 7000000A
	ds_read_b64_tr_b16 a[114:115], v10 offset:256              // 000000005F6C: DBC60100 7200000A
	v_mfma_f32_16x16x32_f16 v[56:59], v[84:87], a[60:63], v[56:59]// 000000005F74: D3D40038 14E27954
	v_fma_f32 v36, v36, s57, -v104                             // 000000005F7C: D1CB0024 85A07324
	v_fma_f32 v37, v37, s57, -v105                             // 000000005F84: D1CB0025 85A47325
	v_exp_f32_e32 v28, v28                                     // 000000005F8C: 7E38411C
	v_exp_f32_e32 v29, v29                                     // 000000005F90: 7E3A411D
	v_mfma_f32_16x16x32_f16 v[60:63], v[72:75], a[64:67], 0    // 000000005F94: D3D4003C 12028148
	ds_read_b64_tr_b16 a[116:117], v10 offset:1024             // 000000005F9C: DBC60400 7400000A
	ds_read_b64_tr_b16 a[118:119], v10 offset:1280             // 000000005FA4: DBC60500 7600000A
	v_mfma_f32_16x16x32_f16 v[60:63], v[76:79], a[68:71], v[60:63]// 000000005FAC: D3D4003C 14F2894C
	v_fma_f32 v38, v38, s57, -v106                             // 000000005FB4: D1CB0026 85A87326
	v_fma_f32 v39, v39, s57, -v107                             // 000000005FBC: D1CB0027 85AC7327
	v_exp_f32_e32 v30, v30                                     // 000000005FC4: 7E3C411E
	v_exp_f32_e32 v31, v31                                     // 000000005FC8: 7E3E411F
	v_mfma_f32_16x16x32_f16 v[60:63], v[80:83], a[72:75], v[60:63]// 000000005FCC: D3D4003C 14F29150
	v_exp_f32_e32 v32, v32                                     // 000000005FD4: 7E404120
	v_exp_f32_e32 v33, v33                                     // 000000005FD8: 7E424121
	v_mfma_f32_16x16x32_f16 v[60:63], v[84:87], a[76:79], v[60:63]// 000000005FDC: D3D4003C 14F29954
	v_cvt_pk_f16_f32 v116, v24, v25                            // 000000005FE4: D2670074 00023318
	v_cvt_pk_f16_f32 v117, v26, v27                            // 000000005FEC: D2670075 0002371A
	v_exp_f32_e32 v34, v34                                     // 000000005FF4: 7E444122
	v_mfma_f32_16x16x32_f16 v[64:67], v[72:75], a[80:83], 0    // 000000005FF8: D3D40040 1202A148
	v_exp_f32_e32 v35, v35                                     // 000000006000: 7E464123
	v_exp_f32_e32 v36, v36                                     // 000000006004: 7E484124
	v_mfma_f32_16x16x32_f16 v[64:67], v[76:79], a[84:87], v[64:67]// 000000006008: D3D40040 1502A94C
	v_cvt_pk_f16_f32 v118, v28, v29                            // 000000006010: D2670076 00023B1C
	v_cvt_pk_f16_f32 v119, v30, v31                            // 000000006018: D2670077 00023F1E
	v_exp_f32_e32 v37, v37                                     // 000000006020: 7E4A4125
	v_mfma_f32_16x16x32_f16 v[64:67], v[80:83], a[88:91], v[64:67]// 000000006024: D3D40040 1502B150
	ds_read_b64_tr_b16 a[120:121], v10 offset:2048             // 00000000602C: DBC60800 7800000A
	ds_read_b64_tr_b16 a[122:123], v10 offset:2304             // 000000006034: DBC60900 7A00000A
	v_mfma_f32_16x16x32_f16 v[64:67], v[84:87], a[92:95], v[64:67]// 00000000603C: D3D40040 1502B954
	v_exp_f32_e32 v38, v38                                     // 000000006044: 7E4C4126
	v_exp_f32_e32 v39, v39                                     // 000000006048: 7E4E4127
	v_permlane16_swap_b32_e32 v116, v118                       // 00000000604C: 7EE8B376
	v_mfma_f32_16x16x32_f16 v[68:71], v[72:75], a[96:99], 0    // 000000006050: D3D40044 1202C148
	ds_read_b64_tr_b16 a[124:125], v10 offset:3072             // 000000006058: DBC60C00 7C00000A
	ds_read_b64_tr_b16 a[126:127], v10 offset:3328             // 000000006060: DBC60D00 7E00000A
	v_mfma_f32_16x16x32_f16 v[68:71], v[76:79], a[100:103], v[68:71]// 000000006068: D3D40044 1512C94C
	v_cvt_pk_f16_f32 v120, v32, v33                            // 000000006070: D2670078 00024320
	v_cvt_pk_f16_f32 v121, v34, v35                            // 000000006078: D2670079 00024722
	v_cvt_pk_f16_f32 v122, v36, v37                            // 000000006080: D267007A 00024B24
	v_cvt_pk_f16_f32 v123, v38, v39                            // 000000006088: D267007B 00024F26
	v_permlane16_swap_b32_e32 v117, v119                       // 000000006090: 7EEAB377
	v_mfma_f32_16x16x32_f16 v[68:71], v[80:83], a[104:107], v[68:71]// 000000006094: D3D40044 1512D150
	v_permlane16_swap_b32_e32 v120, v122                       // 00000000609C: 7EF0B37A
	v_mfma_f32_16x16x32_f16 v[68:71], v[84:87], a[108:111], v[68:71]// 0000000060A0: D3D40044 1512D954
	v_permlane16_swap_b32_e32 v121, v123                       // 0000000060A8: 7EF2B37B
	s_waitcnt lgkmcnt(8)                                       // 0000000060AC: BF8CC87F
	v_mfma_f32_32x32x16_f16 v[126:141], v[88:91], v[116:119], v[126:141]// 0000000060B0: D3D5007E 05FAE958
	ds_read_b64_tr_b16 a[0:1], v15                             // 0000000060B8: DBC60000 0000000F
	ds_read_b64_tr_b16 a[2:3], v15 offset:256                  // 0000000060C0: DBC60100 0200000F
	ds_read_b64_tr_b16 a[4:5], v16                             // 0000000060C8: DBC60000 04000010
	ds_read_b64_tr_b16 a[6:7], v16 offset:256                  // 0000000060D0: DBC60100 06000010
	buffer_atomic_add_f32 v110, v6, s[32:35], 0 offen          // 0000000060D8: E1341000 80086E06
	v_mfma_f32_32x32x16_f16 v[142:157], v[92:95], v[116:119], v[142:157]// 0000000060E0: D3D5008E 063AE95C
	v_subrev_f32_dpp v56, v124, v56 quad_perm:[0,0,0,0] row_mask:0xf bank_mask:0xf// 0000000060E8: 067070FA FF00007C
	v_subrev_f32_dpp v57, v124, v57 quad_perm:[1,1,1,1] row_mask:0xf bank_mask:0xf// 0000000060F0: 067272FA FF00557C
	v_subrev_f32_dpp v58, v124, v58 quad_perm:[2,2,2,2] row_mask:0xf bank_mask:0xf// 0000000060F8: 067474FA FF00AA7C
	v_subrev_f32_dpp v59, v124, v59 quad_perm:[3,3,3,3] row_mask:0xf bank_mask:0xf// 000000006100: 067676FA FF00FF7C
	v_subrev_f32_dpp v60, v124, v60 quad_perm:[0,0,0,0] row_mask:0xf bank_mask:0xf// 000000006108: 067878FA FF00007C
	v_subrev_f32_dpp v61, v124, v61 quad_perm:[1,1,1,1] row_mask:0xf bank_mask:0xf// 000000006110: 067A7AFA FF00557C
	v_subrev_f32_dpp v62, v124, v62 quad_perm:[2,2,2,2] row_mask:0xf bank_mask:0xf// 000000006118: 067C7CFA FF00AA7C
	v_subrev_f32_dpp v63, v124, v63 quad_perm:[3,3,3,3] row_mask:0xf bank_mask:0xf// 000000006120: 067E7EFA FF00FF7C
	v_mul_f32_e32 v56, v24, v56                                // 000000006128: 0A707118
	v_mul_f32_e32 v57, v25, v57                                // 00000000612C: 0A727319
	v_mfma_f32_32x32x16_f16 v[158:173], v[96:99], v[116:119], v[158:173]// 000000006130: D3D5009E 067AE960
	ds_read_b64_tr_b16 a[8:9], v15 offset:8192                 // 000000006138: DBC62000 0800000F
	ds_read_b64_tr_b16 a[10:11], v15 offset:8448               // 000000006140: DBC62100 0A00000F
	ds_read_b64_tr_b16 a[12:13], v16 offset:8192               // 000000006148: DBC62000 0C000010
	ds_read_b64_tr_b16 a[14:15], v16 offset:8448               // 000000006150: DBC62100 0E000010
	v_mfma_f32_32x32x16_f16 v[174:189], v[100:103], v[116:119], v[174:189]// 000000006158: D3D500AE 06BAE964
	v_mul_f32_e32 v58, v26, v58                                // 000000006160: 0A74751A
	v_mul_f32_e32 v59, v27, v59                                // 000000006164: 0A76771B
	v_mul_f32_e32 v60, v28, v60                                // 000000006168: 0A78791C
	v_mul_f32_e32 v61, v29, v61                                // 00000000616C: 0A7A7B1D
	v_mul_f32_e32 v62, v30, v62                                // 000000006170: 0A7C7D1E
	v_mul_f32_e32 v63, v31, v63                                // 000000006174: 0A7E7F1F
	v_cvt_pk_f16_f32 v56, v56, v57                             // 000000006178: D2670038 00027338
	v_cvt_pk_f16_f32 v57, v58, v59                             // 000000006180: D2670039 0002773A
	v_cvt_pk_f16_f32 v58, v60, v61                             // 000000006188: D267003A 00027B3C
	v_cvt_pk_f16_f32 v59, v62, v63                             // 000000006190: D267003B 00027F3E
	v_subrev_f32_dpp v64, v124, v64 quad_perm:[0,0,0,0] row_mask:0xf bank_mask:0xf// 000000006198: 068080FA FF00007C
	v_subrev_f32_dpp v65, v124, v65 quad_perm:[1,1,1,1] row_mask:0xf bank_mask:0xf// 0000000061A0: 068282FA FF00557C
	v_subrev_f32_dpp v66, v124, v66 quad_perm:[2,2,2,2] row_mask:0xf bank_mask:0xf// 0000000061A8: 068484FA FF00AA7C
	v_subrev_f32_dpp v67, v124, v67 quad_perm:[3,3,3,3] row_mask:0xf bank_mask:0xf// 0000000061B0: 068686FA FF00FF7C
	v_mfma_f32_32x32x16_f16 v[190:205], v[88:91], v[120:123], v[190:205]// 0000000061B8: D3D500BE 06FAF158
	ds_read_b64_tr_b16 a[16:17], v15 offset:16384              // 0000000061C0: DBC64000 1000000F
	ds_read_b64_tr_b16 a[18:19], v15 offset:16640              // 0000000061C8: DBC64100 1200000F
	ds_write_b64 v12, v[56:57] offset:32768                    // 0000000061D0: D89A8000 0000380C
	ds_write_b64 v12, v[58:59] offset:35072                    // 0000000061D8: D89A8900 00003A0C
	buffer_atomic_add_f32 v111, v7, s[32:35], 0 offen          // 0000000061E0: E1341000 80086F07
	v_mfma_f32_32x32x16_f16 v[206:221], v[92:95], v[120:123], v[206:221]// 0000000061E8: D3D500CE 073AF15C
	v_subrev_f32_dpp v68, v124, v68 quad_perm:[0,0,0,0] row_mask:0xf bank_mask:0xf// 0000000061F0: 068888FA FF00007C
	v_subrev_f32_dpp v69, v124, v69 quad_perm:[1,1,1,1] row_mask:0xf bank_mask:0xf// 0000000061F8: 068A8AFA FF00557C
	v_subrev_f32_dpp v70, v124, v70 quad_perm:[2,2,2,2] row_mask:0xf bank_mask:0xf// 000000006200: 068C8CFA FF00AA7C
	v_subrev_f32_dpp v71, v124, v71 quad_perm:[3,3,3,3] row_mask:0xf bank_mask:0xf// 000000006208: 068E8EFA FF00FF7C
	v_mul_f32_e32 v64, v32, v64                                // 000000006210: 0A808120
	v_mul_f32_e32 v65, v33, v65                                // 000000006214: 0A828321
	v_mul_f32_e32 v66, v34, v66                                // 000000006218: 0A848522
	v_mul_f32_e32 v67, v35, v67                                // 00000000621C: 0A868723
	v_mul_f32_e32 v68, v36, v68                                // 000000006220: 0A888924
	v_mul_f32_e32 v69, v37, v69                                // 000000006224: 0A8A8B25
	v_mul_f32_e32 v70, v38, v70                                // 000000006228: 0A8C8D26
	v_mul_f32_e32 v71, v39, v71                                // 00000000622C: 0A8E8F27
	v_cvt_pk_f16_f32 v60, v64, v65                             // 000000006230: D267003C 00028340
	v_cvt_pk_f16_f32 v61, v66, v67                             // 000000006238: D267003D 00028742
	v_cvt_pk_f16_f32 v62, v68, v69                             // 000000006240: D267003E 00028B44
	v_cvt_pk_f16_f32 v63, v70, v71                             // 000000006248: D267003F 00028F46
	v_mfma_f32_32x32x16_f16 v[222:237], v[96:99], v[120:123], v[222:237]// 000000006250: D3D500DE 077AF160
	ds_read_b32 v104, v13 offset:42496                         // 000000006258: D86CA600 6800000D
	ds_read_b32 v124, v13 offset:42752                         // 000000006260: D86CA700 7C00000D
	ds_write_b64 v12, v[60:61] offset:37376                    // 000000006268: D89A9200 00003C0C
	ds_write_b64 v12, v[62:63] offset:39680                    // 000000006270: D89A9B00 00003E0C
	v_mfma_f32_32x32x16_f16 v[238:253], v[100:103], v[120:123], v[238:253]// 000000006278: D3D500EE 07BAF164
	v_permlane16_swap_b32_e32 v56, v58                         // 000000006280: 7E70B33A
	v_permlane16_swap_b32_e32 v57, v59                         // 000000006284: 7E72B33B
	s_nop 1                                                    // 000000006288: BF800001
	s_waitcnt lgkmcnt(12)                                      // 00000000628C: BF8CCC7F
	v_mfma_f32_32x32x16_f16 a[128:143], a[112:115], v[56:59], a[128:143]// 000000006290: D3D58080 0E027170
	ds_read_b64_tr_b16 a[20:21], v16 offset:16384              // 000000006298: DBC64000 14000010
	ds_read_b64_tr_b16 a[22:23], v16 offset:16640              // 0000000062A0: DBC64100 16000010
	ds_read_b64_tr_b16 a[24:25], v15 offset:24576              // 0000000062A8: DBC66000 1800000F
	ds_read_b64_tr_b16 a[26:27], v15 offset:24832              // 0000000062B0: DBC66100 1A00000F
	ds_read_b64_tr_b16 a[28:29], v16 offset:24576              // 0000000062B8: DBC66000 1C000010
	ds_read_b64_tr_b16 a[30:31], v16 offset:24832              // 0000000062C0: DBC66100 1E000010
	ds_read_b64_tr_b16 a[32:33], v15 offset:32768              // 0000000062C8: DBC68000 2000000F
	ds_read_b64_tr_b16 a[34:35], v15 offset:33024              // 0000000062D0: DBC68100 2200000F
	v_mfma_f32_32x32x16_f16 a[144:159], a[116:119], v[56:59], a[144:159]// 0000000062D8: D3D58090 0E427174
	v_permlane16_swap_b32_e32 v60, v62                         // 0000000062E0: 7E78B33E
	buffer_atomic_add_f32 v112, v4, s[32:35], 0 offen offset:64// 0000000062E4: E1341040 80087004
	s_waitcnt lgkmcnt(8)                                       // 0000000062EC: BF8CC87F
	s_barrier                                                  // 0000000062F0: BF8A0000
	v_mfma_f32_32x32x16_f16 a[160:175], a[120:123], v[56:59], a[160:175]// 0000000062F4: D3D580A0 0E827178
	ds_read_b64_tr_b16 v[24:25], v11 offset:32768              // 0000000062FC: D9C68000 1800000B
	ds_read_b64_tr_b16 v[26:27], v11 offset:32800              // 000000006304: D9C68020 1A00000B
	ds_read_b64_tr_b16 v[28:29], v11 offset:33920              // 00000000630C: D9C68480 1C00000B
	ds_read_b64_tr_b16 v[30:31], v11 offset:33952              // 000000006314: D9C684A0 1E00000B
	ds_read_b64_tr_b16 v[32:33], v11 offset:35072              // 00000000631C: D9C68900 2000000B
	ds_read_b64_tr_b16 v[34:35], v11 offset:35104              // 000000006324: D9C68920 2200000B
	ds_read_b64_tr_b16 v[36:37], v11 offset:36224              // 00000000632C: D9C68D80 2400000B
	ds_read_b64_tr_b16 v[38:39], v11 offset:36256              // 000000006334: D9C68DA0 2600000B
	v_mfma_f32_32x32x16_f16 a[176:191], a[124:127], v[56:59], a[176:191]// 00000000633C: D3D580B0 0EC2717C
	v_permlane16_swap_b32_e32 v61, v63                         // 000000006344: 7E7AB33F
	v_mul_f32_e32 v104, s48, v104                              // 000000006348: 0AD0D030
	buffer_atomic_add_f32 v113, v5, s[32:35], 0 offen offset:64// 00000000634C: E1341040 80087105
	v_mfma_f32_32x32x16_f16 a[192:207], a[112:115], v[60:63], a[192:207]// 000000006354: D3D580C0 0F027970
	ds_read_b64_tr_b16 v[40:41], v11 offset:37376              // 00000000635C: D9C69200 2800000B
	ds_read_b64_tr_b16 v[42:43], v11 offset:37408              // 000000006364: D9C69220 2A00000B
	ds_read_b64_tr_b16 v[44:45], v11 offset:38528              // 00000000636C: D9C69680 2C00000B
	ds_read_b64_tr_b16 v[46:47], v11 offset:38560              // 000000006374: D9C696A0 2E00000B
	ds_read_b64_tr_b16 a[36:37], v16 offset:32768              // 00000000637C: DBC68000 24000010
	ds_read_b64_tr_b16 a[38:39], v16 offset:33024              // 000000006384: DBC68100 26000010
	ds_read_b64_tr_b16 a[40:41], v15 offset:40960              // 00000000638C: DBC6A000 2800000F
	ds_read_b64_tr_b16 a[42:43], v15 offset:41216              // 000000006394: DBC6A100 2A00000F
	v_mfma_f32_32x32x16_f16 a[208:223], a[116:119], v[60:63], a[208:223]// 00000000639C: D3D580D0 0F427974
	v_mov_b32_dpp v107, v104 quad_perm:[3,3,3,3] row_mask:0xf bank_mask:0xf// 0000000063A4: 7ED602FA FF00FF68
	v_mov_b32_dpp v106, v104 quad_perm:[2,2,2,2] row_mask:0xf bank_mask:0xf// 0000000063AC: 7ED402FA FF00AA68
	buffer_atomic_add_f32 v114, v6, s[32:35], 0 offen offset:64// 0000000063B4: E1341040 80087206
	v_mfma_f32_32x32x16_f16 a[224:239], a[120:123], v[60:63], a[224:239]// 0000000063BC: D3D580E0 0F827978
	ds_read_b64_tr_b16 v[48:49], v11 offset:39680              // 0000000063C4: D9C69B00 3000000B
	ds_read_b64_tr_b16 v[50:51], v11 offset:39712              // 0000000063CC: D9C69B20 3200000B
	ds_read_b64_tr_b16 v[52:53], v11 offset:40832              // 0000000063D4: D9C69F80 3400000B
	ds_read_b64_tr_b16 v[54:55], v11 offset:40864              // 0000000063DC: D9C69FA0 3600000B
	ds_read_b64_tr_b16 a[44:45], v16 offset:40960              // 0000000063E4: DBC6A000 2C000010
	ds_read_b64_tr_b16 a[46:47], v16 offset:41216              // 0000000063EC: DBC6A100 2E000010
	v_mfma_f32_32x32x16_f16 a[240:255], a[124:127], v[60:63], a[240:255]// 0000000063F4: D3D580F0 0FC2797C
	v_mov_b32_dpp v105, v104 quad_perm:[1,1,1,1] row_mask:0xf bank_mask:0xf// 0000000063FC: 7ED202FA FF005568
	v_mov_b32_dpp v104, v104 quad_perm:[0,0,0,0] row_mask:0xf bank_mask:0xf// 000000006404: 7ED002FA FF000068
	buffer_atomic_add_f32 v115, v7, s[32:35], 0 offen offset:64// 00000000640C: E1341040 80087307
	s_waitcnt vmcnt(8) lgkmcnt(6)                              // 000000006414: BF8C0678
	s_barrier                                                  // 000000006418: BF8A0000
	v_mfma_f32_16x16x32_f16 v[108:111], v[24:27], a[0:3], 0    // 00000000641C: D3D4006C 12020118
	ds_read_b64_tr_b16 v[56:57], v15 offset:49152              // 000000006424: D9C6C000 3800000F
	ds_read_b64_tr_b16 v[58:59], v15 offset:49408              // 00000000642C: D9C6C100 3A00000F
	ds_read_b64_tr_b16 v[60:61], v16 offset:49152              // 000000006434: D9C6C000 3C000010
	ds_read_b64_tr_b16 v[62:63], v16 offset:49408              // 00000000643C: D9C6C100 3E000010
	v_mfma_f32_16x16x32_f16 v[108:111], v[28:31], a[8:11], v[108:111]// 000000006444: D3D4006C 15B2111C
	s_mov_b32 m0, s85                                          // 00000000644C: BEFC0055
	buffer_load_dwordx4 v1, s[8:11], 0 idxen lds               // 000000006450: E05D2000 80020001
	v_mfma_f32_16x16x32_f16 v[108:111], v[32:35], a[16:19], v[108:111]// 000000006458: D3D4006C 15B22120
	ds_read_b64_tr_b16 v[64:65], v15 offset:57344              // 000000006460: D9C6E000 4000000F
	ds_read_b64_tr_b16 v[66:67], v15 offset:57600              // 000000006468: D9C6E100 4200000F
	ds_read_b64_tr_b16 v[68:69], v16 offset:57344              // 000000006470: D9C6E000 44000010
	ds_read_b64_tr_b16 v[70:71], v16 offset:57600              // 000000006478: D9C6E100 46000010
	v_mfma_f32_16x16x32_f16 v[108:111], v[36:39], a[24:27], v[108:111]// 000000006480: D3D4006C 15B23124
	s_mov_b32 m0, s89                                          // 000000006488: BEFC0059
	buffer_load_dwordx4 v254, s[20:23], 0 idxen lds            // 00000000648C: E05D2000 800500FE
	v_mfma_f32_16x16x32_f16 v[108:111], v[40:43], a[32:35], v[108:111]// 000000006494: D3D4006C 15B24128
	ds_read_b128 a[112:115], v9 offset:4096                    // 00000000649C: DBFE1000 70000009
	ds_read_b128 a[116:119], v9 offset:5120                    // 0000000064A4: DBFE1400 74000009
	v_mfma_f32_16x16x32_f16 v[108:111], v[44:47], a[40:43], v[108:111]// 0000000064AC: D3D4006C 15B2512C
	s_mov_b32 m0, s81                                          // 0000000064B4: BEFC0051
	buffer_load_dword v8, s[24:27], 0 idxen lds                // 0000000064B8: E0512000 80060008
	s_waitcnt lgkmcnt(4)                                       // 0000000064C0: BF8CC47F
	s_barrier                                                  // 0000000064C4: BF8A0000
	v_mfma_f32_16x16x32_f16 v[108:111], v[48:51], v[56:59], v[108:111]// 0000000064C8: D3D4006C 05B27130
	ds_read_b128 a[120:123], v9 offset:6144                    // 0000000064D0: DBFE1800 78000009
	ds_read_b128 a[124:127], v9 offset:7168                    // 0000000064D8: DBFE1C00 7C000009
	v_mfma_f32_16x16x32_f16 v[108:111], v[52:55], v[64:67], v[108:111]// 0000000064E0: D3D4006C 05B28134
	s_add_u32 s60, 64, s59                                     // 0000000064E8: 803C3BC0
	s_cmp_lt_u32 s60, s58                                      // 0000000064EC: BF0A3A3C
	s_cselect_b32 s68, s68, 0                                  // 0000000064F0: 85448044
	s_cselect_b32 s98, s98, 0                                  // 0000000064F4: 85628062
	s_cselect_b32 s69, s69, 0                                  // 0000000064F8: 85458045
	v_mfma_f32_16x16x32_f16 v[112:115], v[24:27], a[4:7], 0    // 0000000064FC: D3D40070 12020918
	ds_read_b128 a[0:3], v14                                   // 000000006504: DBFE0000 0000000E
	ds_read_b128 a[4:7], v14 offset:1024                       // 00000000650C: DBFE0400 0400000E
	v_mfma_f32_16x16x32_f16 v[112:115], v[28:31], a[12:15], v[112:115]// 000000006514: D3D40070 15C2191C
	v_add_u32_e32 v1, s68, v1                                  // 00000000651C: 68020244
	v_add_u32_e32 v254, s98, v254                              // 000000006520: 69FDFC62
	v_add_u32_e32 v8, s69, v8                                  // 000000006524: 68101045
	v_mfma_f32_16x16x32_f16 v[112:115], v[32:35], a[20:23], v[112:115]// 000000006528: D3D40070 15C22920
	ds_read_b128 a[8:11], v14 offset:2048                      // 000000006530: DBFE0800 0800000E
	ds_read_b128 a[12:15], v14 offset:3072                     // 000000006538: DBFE0C00 0C00000E
	v_mfma_f32_16x16x32_f16 v[112:115], v[36:39], a[28:31], v[112:115]// 000000006540: D3D40070 15C23924
	v_mul_f32_e32 v108, s47, v108                              // 000000006548: 0AD8D82F
	v_mul_f32_e32 v109, s47, v109                              // 00000000654C: 0ADADA2F
	v_mfma_f32_16x16x32_f16 v[112:115], v[40:43], a[36:39], v[112:115]// 000000006550: D3D40070 15C24928
	ds_read_b128 a[16:19], v14 offset:16384                    // 000000006558: DBFE4000 1000000E
	ds_read_b128 a[20:23], v14 offset:17408                    // 000000006560: DBFE4400 1400000E
	v_mfma_f32_16x16x32_f16 v[112:115], v[44:47], a[44:47], v[112:115]// 000000006568: D3D40070 15C2592C
	v_mul_f32_e32 v110, s47, v110                              // 000000006570: 0ADCDC2F
	s_cmp_ge_u32 s59, s73                                      // 000000006574: BF09493B
	s_cselect_b32 s66, s67, s66                                // 000000006578: 85424243
	s_waitcnt lgkmcnt(10)                                      // 00000000657C: BF8CCA7F
	v_mfma_f32_16x16x32_f16 v[112:115], v[48:51], v[60:63], v[112:115]// 000000006580: D3D40070 05C27930
	ds_read_b128 a[24:27], v14 offset:18432                    // 000000006588: DBFE4800 1800000E
	ds_read_b128 a[28:31], v14 offset:19456                    // 000000006590: DBFE4C00 1C00000E
	v_mfma_f32_16x16x32_f16 v[112:115], v[52:55], v[68:71], v[112:115]// 000000006598: D3D40070 05C28934
	s_addk_i32 s59, 0x10                                       // 0000000065A0: B73B0010
	v_mul_f32_e32 v111, s47, v111                              // 0000000065A4: 0ADEDE2F
	s_cmp_lt_i32 s59, s58                                      // 0000000065A8: BF043A3B
	s_cbranch_scc0 label_12CC                                  // 0000000065AC: BF84094C
	s_waitcnt lgkmcnt(2)                                       // 0000000065B0: BF8CC27F
	v_mfma_f32_16x16x32_f16 v[24:27], a[112:115], a[0:3], 0    // 0000000065B4: D3D40018 1A020170
	ds_read_b128 a[32:35], v14 offset:32768                    // 0000000065BC: DBFE8000 2000000E
	ds_read_b128 a[36:39], v14 offset:33792                    // 0000000065C4: DBFE8400 2400000E
	v_mfma_f32_16x16x32_f16 v[24:27], a[116:119], a[4:7], v[24:27]// 0000000065CC: D3D40018 1C620974
	v_add_u32_e32 v4, s66, v4                                  // 0000000065D4: 68080842
	v_add_u32_e32 v5, s66, v5                                  // 0000000065D8: 680A0A42
	v_add_u32_e32 v6, s66, v6                                  // 0000000065DC: 680C0C42
	v_add_u32_e32 v7, s66, v7                                  // 0000000065E0: 680E0E42
	v_mfma_f32_16x16x32_f16 v[24:27], a[120:123], a[8:11], v[24:27]// 0000000065E4: D3D40018 1C621178
	ds_read_b128 a[40:43], v14 offset:34816                    // 0000000065EC: DBFE8800 2800000E
	ds_read_b128 a[44:47], v14 offset:35840                    // 0000000065F4: DBFE8C00 2C00000E
	v_mfma_f32_16x16x32_f16 v[24:27], a[124:127], a[12:15], v[24:27]// 0000000065FC: D3D40018 1C62197C
	v_mul_f32_e32 v112, s47, v112                              // 000000006604: 0AE0E02F
	v_mul_f32_e32 v113, s47, v113                              // 000000006608: 0AE2E22F
	v_mfma_f32_16x16x32_f16 v[28:31], a[112:115], a[16:19], 0  // 00000000660C: D3D4001C 1A022170
	ds_read_b128 v[56:59], v14 offset:49152                    // 000000006614: D9FEC000 3800000E
	ds_read_b128 v[60:63], v14 offset:50176                    // 00000000661C: D9FEC400 3C00000E
	v_mfma_f32_16x16x32_f16 v[28:31], a[116:119], a[20:23], v[28:31]// 000000006624: D3D4001C 1C722974
	v_mul_f32_e32 v114, s47, v114                              // 00000000662C: 0AE4E42F
	v_mul_f32_e32 v115, s47, v115                              // 000000006630: 0AE6E62F
	s_waitcnt lgkmcnt(6)                                       // 000000006634: BF8CC67F
	v_mfma_f32_16x16x32_f16 v[28:31], a[120:123], a[24:27], v[28:31]// 000000006638: D3D4001C 1C723178
	ds_read_b128 v[64:67], v14 offset:51200                    // 000000006640: D9FEC800 4000000E
	ds_read_b128 v[68:71], v14 offset:52224                    // 000000006648: D9FECC00 4400000E
	v_mfma_f32_16x16x32_f16 v[28:31], a[124:127], a[28:31], v[28:31]// 000000006650: D3D4001C 1C72397C
	v_fma_f32 v24, v24, s57, -v104                             // 000000006658: D1CB0018 85A07318
	v_fma_f32 v25, v25, s57, -v105                             // 000000006660: D1CB0019 85A47319
	s_waitcnt lgkmcnt(6)                                       // 000000006668: BF8CC67F
	v_mfma_f32_16x16x32_f16 v[32:35], a[112:115], a[32:35], 0  // 00000000666C: D3D40020 1A024170
	ds_read_b128 v[72:75], v9 offset:20480                     // 000000006674: D9FE5000 48000009
	ds_read_b128 v[76:79], v9 offset:21504                     // 00000000667C: D9FE5400 4C000009
	v_mfma_f32_16x16x32_f16 v[32:35], a[116:119], a[36:39], v[32:35]// 000000006684: D3D40020 1C824974
	v_fma_f32 v26, v26, s57, -v106                             // 00000000668C: D1CB001A 85A8731A
	v_fma_f32 v27, v27, s57, -v107                             // 000000006694: D1CB001B 85AC731B
	buffer_atomic_add_f32 v108, v4, s[32:35], 0 offen          // 00000000669C: E1341000 80086C04
	s_waitcnt lgkmcnt(6)                                       // 0000000066A4: BF8CC67F
	v_mfma_f32_16x16x32_f16 v[32:35], a[120:123], a[40:43], v[32:35]// 0000000066A8: D3D40020 1C825178
	ds_read_b128 v[80:83], v9 offset:22528                     // 0000000066B0: D9FE5800 50000009
	ds_read_b128 v[84:87], v9 offset:23552                     // 0000000066B8: D9FE5C00 54000009
	v_mfma_f32_16x16x32_f16 v[32:35], a[124:127], a[44:47], v[32:35]// 0000000066C0: D3D40020 1C82597C
	v_fma_f32 v28, v28, s57, -v104                             // 0000000066C8: D1CB001C 85A0731C
	v_fma_f32 v29, v29, s57, -v105                             // 0000000066D0: D1CB001D 85A4731D
	s_waitcnt lgkmcnt(6)                                       // 0000000066D8: BF8CC67F
	v_mfma_f32_16x16x32_f16 v[36:39], a[112:115], v[56:59], 0  // 0000000066DC: D3D40024 0A027170
	ds_read_b64_tr_b16 v[88:89], v10 offset:20480              // 0000000066E4: D9C65000 5800000A
	ds_read_b64_tr_b16 v[90:91], v10 offset:20736              // 0000000066EC: D9C65100 5A00000A
	ds_read_b64_tr_b16 v[92:93], v10 offset:21504              // 0000000066F4: D9C65400 5C00000A
	ds_read_b64_tr_b16 v[94:95], v10 offset:21760              // 0000000066FC: D9C65500 5E00000A
	v_mfma_f32_16x16x32_f16 v[36:39], a[116:119], v[60:63], v[36:39]// 000000006704: D3D40024 0C927974
	v_fma_f32 v30, v30, s57, -v106                             // 00000000670C: D1CB001E 85A8731E
	v_fma_f32 v31, v31, s57, -v107                             // 000000006714: D1CB001F 85AC731F
	s_waitcnt lgkmcnt(8)                                       // 00000000671C: BF8CC87F
	v_mfma_f32_16x16x32_f16 v[36:39], a[120:123], v[64:67], v[36:39]// 000000006720: D3D40024 0C928178
	ds_read_b64_tr_b16 v[96:97], v10 offset:22528              // 000000006728: D9C65800 6000000A
	ds_read_b64_tr_b16 v[98:99], v10 offset:22784              // 000000006730: D9C65900 6200000A
	ds_read_b64_tr_b16 v[100:101], v10 offset:23552            // 000000006738: D9C65C00 6400000A
	ds_read_b64_tr_b16 v[102:103], v10 offset:23808            // 000000006740: D9C65D00 6600000A
	v_mfma_f32_16x16x32_f16 v[36:39], a[124:127], v[68:71], v[36:39]// 000000006748: D3D40024 0C92897C
	v_fma_f32 v32, v32, s57, -v104                             // 000000006750: D1CB0020 85A07320
	v_fma_f32 v33, v33, s57, -v105                             // 000000006758: D1CB0021 85A47321
	v_fma_f32 v34, v34, s57, -v106                             // 000000006760: D1CB0022 85A87322
	v_fma_f32 v35, v35, s57, -v107                             // 000000006768: D1CB0023 85AC7323
	buffer_atomic_add_f32 v109, v5, s[32:35], 0 offen          // 000000006770: E1341000 80086D05
	s_cmp_lt_i32 s74, 16                                       // 000000006778: BF04904A
	s_cbranch_scc0 label_0A7F                                  // 00000000677C: BF84009A
	s_mov_b32 s60, 0xffe0fffe                                  // 000000006780: BEBC00FF FFE0FFFE
	s_mov_b32 s61, 0xe000fe00                                  // 000000006788: BEBD00FF E000FE00
	s_nop 0                                                    // 000000006790: BF800000
	s_add_u32 s62, 0, s46                                      // 000000006794: 803E2E80
	s_cmp_lt_i32 s74, s62                                      // 000000006798: BF043E4A
	s_cbranch_scc1 label_0A1A                                  // 00000000679C: BF85002D
	s_cmp_eq_i32 s74, s62                                      // 0000000067A0: BF003E4A
	s_cbranch_scc1 label_09FF                                  // 0000000067A4: BF850010
	s_add_u32 s62, 4, s46                                      // 0000000067A8: 803E2E84
	s_cmp_lt_i32 s74, s62                                      // 0000000067AC: BF043E4A
	s_cbranch_scc1 label_0A3A                                  // 0000000067B0: BF850048
	s_cmp_eq_i32 s74, s62                                      // 0000000067B4: BF003E4A
	s_cbranch_scc1 label_0A1F                                  // 0000000067B8: BF85002B
	s_add_u32 s62, 8, s46                                      // 0000000067BC: 803E2E88
	s_cmp_lt_i32 s74, s62                                      // 0000000067C0: BF043E4A
	s_cbranch_scc1 label_0A5A                                  // 0000000067C4: BF850063
	s_cmp_eq_i32 s74, s62                                      // 0000000067C8: BF003E4A
	s_cbranch_scc1 label_0A3F                                  // 0000000067CC: BF850046
	s_add_u32 s62, 12, s46                                     // 0000000067D0: 803E2E8C
	s_cmp_lt_i32 s74, s62                                      // 0000000067D4: BF043E4A
	s_cbranch_scc1 label_0A7A                                  // 0000000067D8: BF85007E
	s_cmp_eq_i32 s74, s62                                      // 0000000067DC: BF003E4A
	s_cbranch_scc1 label_0A5F                                  // 0000000067E0: BF850061
	s_branch label_0A7F                                        // 0000000067E4: BF820080

00000000000067e8 <label_09FF>:
	v_cndmask_b32_e64 v24, v24, v125, s[60:61]                 // 0000000067E8: D1000018 00F2FB18
	s_lshl_b32 s60, s60, 1                                     // 0000000067F0: 8E3C813C
	s_lshl_b32 s61, s61, 1                                     // 0000000067F4: 8E3D813D
	s_and_b32 s60, 0xfffeffff, s60                             // 0000000067F8: 863C3CFF FFFEFFFF
	s_and_b32 s61, 0xfffeffff, s61                             // 000000006800: 863D3DFF FFFEFFFF
	v_cndmask_b32_e64 v25, v25, v125, s[60:61]                 // 000000006808: D1000019 00F2FB19
	s_lshl_b32 s60, s60, 1                                     // 000000006810: 8E3C813C
	s_lshl_b32 s61, s61, 1                                     // 000000006814: 8E3D813D
	s_and_b32 s60, 0xfffeffff, s60                             // 000000006818: 863C3CFF FFFEFFFF
	s_and_b32 s61, 0xfffeffff, s61                             // 000000006820: 863D3DFF FFFEFFFF
	v_cndmask_b32_e64 v26, v26, v125, s[60:61]                 // 000000006828: D100001A 00F2FB1A
	s_lshl_b32 s60, s60, 1                                     // 000000006830: 8E3C813C
	s_lshl_b32 s61, s61, 1                                     // 000000006834: 8E3D813D
	s_and_b32 s60, 0xfffeffff, s60                             // 000000006838: 863C3CFF FFFEFFFF
	s_and_b32 s61, 0xfffeffff, s61                             // 000000006840: 863D3DFF FFFEFFFF
	v_cndmask_b32_e64 v27, v27, v125, s[60:61]                 // 000000006848: D100001B 00F2FB1B
	s_branch label_0A3A                                        // 000000006850: BF820020

0000000000006854 <label_0A1A>:
	v_mov_b32_e32 v24, v125                                    // 000000006854: 7E30037D
	v_mov_b32_e32 v25, v125                                    // 000000006858: 7E32037D
	v_mov_b32_e32 v26, v125                                    // 00000000685C: 7E34037D
	v_mov_b32_e32 v27, v125                                    // 000000006860: 7E36037D
	s_branch label_0A3A                                        // 000000006864: BF82001B

0000000000006868 <label_0A1F>:
	v_cndmask_b32_e64 v28, v28, v125, s[60:61]                 // 000000006868: D100001C 00F2FB1C
	s_lshl_b32 s60, s60, 1                                     // 000000006870: 8E3C813C
	s_lshl_b32 s61, s61, 1                                     // 000000006874: 8E3D813D
	s_and_b32 s60, 0xfffeffff, s60                             // 000000006878: 863C3CFF FFFEFFFF
	s_and_b32 s61, 0xfffeffff, s61                             // 000000006880: 863D3DFF FFFEFFFF
	v_cndmask_b32_e64 v29, v29, v125, s[60:61]                 // 000000006888: D100001D 00F2FB1D
	s_lshl_b32 s60, s60, 1                                     // 000000006890: 8E3C813C
	s_lshl_b32 s61, s61, 1                                     // 000000006894: 8E3D813D
	s_and_b32 s60, 0xfffeffff, s60                             // 000000006898: 863C3CFF FFFEFFFF
	s_and_b32 s61, 0xfffeffff, s61                             // 0000000068A0: 863D3DFF FFFEFFFF
	v_cndmask_b32_e64 v30, v30, v125, s[60:61]                 // 0000000068A8: D100001E 00F2FB1E
	s_lshl_b32 s60, s60, 1                                     // 0000000068B0: 8E3C813C
	s_lshl_b32 s61, s61, 1                                     // 0000000068B4: 8E3D813D
	s_and_b32 s60, 0xfffeffff, s60                             // 0000000068B8: 863C3CFF FFFEFFFF
	s_and_b32 s61, 0xfffeffff, s61                             // 0000000068C0: 863D3DFF FFFEFFFF
	v_cndmask_b32_e64 v31, v31, v125, s[60:61]                 // 0000000068C8: D100001F 00F2FB1F
	s_branch label_0A5A                                        // 0000000068D0: BF820020

00000000000068d4 <label_0A3A>:
	v_mov_b32_e32 v28, v125                                    // 0000000068D4: 7E38037D
	v_mov_b32_e32 v29, v125                                    // 0000000068D8: 7E3A037D
	v_mov_b32_e32 v30, v125                                    // 0000000068DC: 7E3C037D
	v_mov_b32_e32 v31, v125                                    // 0000000068E0: 7E3E037D
	s_branch label_0A5A                                        // 0000000068E4: BF82001B

00000000000068e8 <label_0A3F>:
	v_cndmask_b32_e64 v32, v32, v125, s[60:61]                 // 0000000068E8: D1000020 00F2FB20
	s_lshl_b32 s60, s60, 1                                     // 0000000068F0: 8E3C813C
	s_lshl_b32 s61, s61, 1                                     // 0000000068F4: 8E3D813D
	s_and_b32 s60, 0xfffeffff, s60                             // 0000000068F8: 863C3CFF FFFEFFFF
	s_and_b32 s61, 0xfffeffff, s61                             // 000000006900: 863D3DFF FFFEFFFF
	v_cndmask_b32_e64 v33, v33, v125, s[60:61]                 // 000000006908: D1000021 00F2FB21
	s_lshl_b32 s60, s60, 1                                     // 000000006910: 8E3C813C
	s_lshl_b32 s61, s61, 1                                     // 000000006914: 8E3D813D
	s_and_b32 s60, 0xfffeffff, s60                             // 000000006918: 863C3CFF FFFEFFFF
	s_and_b32 s61, 0xfffeffff, s61                             // 000000006920: 863D3DFF FFFEFFFF
	v_cndmask_b32_e64 v34, v34, v125, s[60:61]                 // 000000006928: D1000022 00F2FB22
	s_lshl_b32 s60, s60, 1                                     // 000000006930: 8E3C813C
	s_lshl_b32 s61, s61, 1                                     // 000000006934: 8E3D813D
	s_and_b32 s60, 0xfffeffff, s60                             // 000000006938: 863C3CFF FFFEFFFF
	s_and_b32 s61, 0xfffeffff, s61                             // 000000006940: 863D3DFF FFFEFFFF
	v_cndmask_b32_e64 v35, v35, v125, s[60:61]                 // 000000006948: D1000023 00F2FB23
	s_branch label_0A7A                                        // 000000006950: BF820020

0000000000006954 <label_0A5A>:
	v_mov_b32_e32 v32, v125                                    // 000000006954: 7E40037D
	v_mov_b32_e32 v33, v125                                    // 000000006958: 7E42037D
	v_mov_b32_e32 v34, v125                                    // 00000000695C: 7E44037D
	v_mov_b32_e32 v35, v125                                    // 000000006960: 7E46037D
	s_branch label_0A7A                                        // 000000006964: BF82001B

0000000000006968 <label_0A5F>:
	v_cndmask_b32_e64 v36, v36, v125, s[60:61]                 // 000000006968: D1000024 00F2FB24
	s_lshl_b32 s60, s60, 1                                     // 000000006970: 8E3C813C
	s_lshl_b32 s61, s61, 1                                     // 000000006974: 8E3D813D
	s_and_b32 s60, 0xfffeffff, s60                             // 000000006978: 863C3CFF FFFEFFFF
	s_and_b32 s61, 0xfffeffff, s61                             // 000000006980: 863D3DFF FFFEFFFF
	v_cndmask_b32_e64 v37, v37, v125, s[60:61]                 // 000000006988: D1000025 00F2FB25
	s_lshl_b32 s60, s60, 1                                     // 000000006990: 8E3C813C
	s_lshl_b32 s61, s61, 1                                     // 000000006994: 8E3D813D
	s_and_b32 s60, 0xfffeffff, s60                             // 000000006998: 863C3CFF FFFEFFFF
	s_and_b32 s61, 0xfffeffff, s61                             // 0000000069A0: 863D3DFF FFFEFFFF
	v_cndmask_b32_e64 v38, v38, v125, s[60:61]                 // 0000000069A8: D1000026 00F2FB26
	s_lshl_b32 s60, s60, 1                                     // 0000000069B0: 8E3C813C
	s_lshl_b32 s61, s61, 1                                     // 0000000069B4: 8E3D813D
	s_and_b32 s60, 0xfffeffff, s60                             // 0000000069B8: 863C3CFF FFFEFFFF
	s_and_b32 s61, 0xfffeffff, s61                             // 0000000069C0: 863D3DFF FFFEFFFF
	v_cndmask_b32_e64 v39, v39, v125, s[60:61]                 // 0000000069C8: D1000027 00F2FB27
	s_branch label_0A7F                                        // 0000000069D0: BF820005

00000000000069d4 <label_0A7A>:
	v_mov_b32_e32 v36, v125                                    // 0000000069D4: 7E48037D
	v_mov_b32_e32 v37, v125                                    // 0000000069D8: 7E4A037D
	v_mov_b32_e32 v38, v125                                    // 0000000069DC: 7E4C037D
	v_mov_b32_e32 v39, v125                                    // 0000000069E0: 7E4E037D
	s_branch label_0A7F                                        // 0000000069E4: BF820000

00000000000069e8 <label_0A7F>:
	s_cmp_lt_i32 s99, 0x100                                    // 0000000069E8: BF04FF63 00000100
	s_cbranch_scc0 label_0AF0                                  // 0000000069F0: BF840069
	s_cmp_le_i32 s99, 64                                       // 0000000069F4: BF05C063
	s_cbranch_scc1 label_0A8E                                  // 0000000069F8: BF85000A
	s_cmp_le_i32 s99, 0x80                                     // 0000000069FC: BF05FF63 00000080
	s_cbranch_scc1 label_0AA6                                  // 000000006A04: BF85001A
	s_cmp_lt_i32 s99, 0xc0                                     // 000000006A08: BF04FF63 000000C0
	s_cbranch_scc1 label_0ABE                                  // 000000006A10: BF85002F
	s_cmp_lt_i32 s99, 0x100                                    // 000000006A14: BF04FF63 00000100
	s_cbranch_scc1 label_0AD7                                  // 000000006A1C: BF850045
	s_branch label_0AF0                                        // 000000006A20: BF82005D

0000000000006a24 <label_0A8E>:
	s_mov_b32 s60, 0                                           // 000000006A24: BEBC0080
	v_and_b32_e32 v20, 15, v0                                  // 000000006A28: 2628008F
	v_add_u32_e64 v20, v20, s60                                // 000000006A2C: D1340014 00007914
	v_mul_i32_i24_e64 v21, s46, 16                             // 000000006A34: D1060015 0001202E
	v_add_u32_e32 v20, v20, v21                                // 000000006A3C: 68282B14
	v_cmp_lt_u32_e64 s[60:61], v20, s99                        // 000000006A40: D0C9003C 0000C714
	s_nop 1                                                    // 000000006A48: BF800001
	v_cndmask_b32_e64 v24, v125, v24, s[60:61]                 // 000000006A4C: D1000018 00F2317D
	v_cndmask_b32_e64 v25, v125, v25, s[60:61]                 // 000000006A54: D1000019 00F2337D
	v_cndmask_b32_e64 v26, v125, v26, s[60:61]                 // 000000006A5C: D100001A 00F2357D
	v_cndmask_b32_e64 v27, v125, v27, s[60:61]                 // 000000006A64: D100001B 00F2377D
	s_branch label_0AB9                                        // 000000006A6C: BF820013

0000000000006a70 <label_0AA6>:
	s_mov_b32 s60, 64                                          // 000000006A70: BEBC00C0
	v_and_b32_e32 v20, 15, v0                                  // 000000006A74: 2628008F
	v_add_u32_e64 v20, v20, s60                                // 000000006A78: D1340014 00007914
	v_mul_i32_i24_e64 v21, s46, 16                             // 000000006A80: D1060015 0001202E
	v_add_u32_e32 v20, v20, v21                                // 000000006A88: 68282B14
	v_cmp_lt_u32_e64 s[60:61], v20, s99                        // 000000006A8C: D0C9003C 0000C714
	s_nop 1                                                    // 000000006A94: BF800001
	v_cndmask_b32_e64 v28, v125, v28, s[60:61]                 // 000000006A98: D100001C 00F2397D
	v_cndmask_b32_e64 v29, v125, v29, s[60:61]                 // 000000006AA0: D100001D 00F23B7D
	v_cndmask_b32_e64 v30, v125, v30, s[60:61]                 // 000000006AA8: D100001E 00F23D7D
	v_cndmask_b32_e64 v31, v125, v31, s[60:61]                 // 000000006AB0: D100001F 00F23F7D
	s_branch label_0AD2                                        // 000000006AB8: BF820019

0000000000006abc <label_0AB9>:
	v_mov_b32_e32 v28, v125                                    // 000000006ABC: 7E38037D
	v_mov_b32_e32 v29, v125                                    // 000000006AC0: 7E3A037D
	v_mov_b32_e32 v30, v125                                    // 000000006AC4: 7E3C037D
	v_mov_b32_e32 v31, v125                                    // 000000006AC8: 7E3E037D
	s_branch label_0AD2                                        // 000000006ACC: BF820014

0000000000006ad0 <label_0ABE>:
	s_mov_b32 s60, 0x80                                        // 000000006AD0: BEBC00FF 00000080
	v_and_b32_e32 v20, 15, v0                                  // 000000006AD8: 2628008F
	v_add_u32_e64 v20, v20, s60                                // 000000006ADC: D1340014 00007914
	v_mul_i32_i24_e64 v21, s46, 16                             // 000000006AE4: D1060015 0001202E
	v_add_u32_e32 v20, v20, v21                                // 000000006AEC: 68282B14
	v_cmp_lt_u32_e64 s[60:61], v20, s99                        // 000000006AF0: D0C9003C 0000C714
	s_nop 1                                                    // 000000006AF8: BF800001
	v_cndmask_b32_e64 v32, v125, v32, s[60:61]                 // 000000006AFC: D1000020 00F2417D
	v_cndmask_b32_e64 v33, v125, v33, s[60:61]                 // 000000006B04: D1000021 00F2437D
	v_cndmask_b32_e64 v34, v125, v34, s[60:61]                 // 000000006B0C: D1000022 00F2457D
	v_cndmask_b32_e64 v35, v125, v35, s[60:61]                 // 000000006B14: D1000023 00F2477D
	s_branch label_0AEB                                        // 000000006B1C: BF820019

0000000000006b20 <label_0AD2>:
	v_mov_b32_e32 v32, v125                                    // 000000006B20: 7E40037D
	v_mov_b32_e32 v33, v125                                    // 000000006B24: 7E42037D
	v_mov_b32_e32 v34, v125                                    // 000000006B28: 7E44037D
	v_mov_b32_e32 v35, v125                                    // 000000006B2C: 7E46037D
	s_branch label_0AEB                                        // 000000006B30: BF820014

0000000000006b34 <label_0AD7>:
	s_mov_b32 s60, 0xc0                                        // 000000006B34: BEBC00FF 000000C0
	v_and_b32_e32 v20, 15, v0                                  // 000000006B3C: 2628008F
	v_add_u32_e64 v20, v20, s60                                // 000000006B40: D1340014 00007914
	v_mul_i32_i24_e64 v21, s46, 16                             // 000000006B48: D1060015 0001202E
	v_add_u32_e32 v20, v20, v21                                // 000000006B50: 68282B14
	v_cmp_lt_u32_e64 s[60:61], v20, s99                        // 000000006B54: D0C9003C 0000C714
	s_nop 1                                                    // 000000006B5C: BF800001
	v_cndmask_b32_e64 v36, v125, v36, s[60:61]                 // 000000006B60: D1000024 00F2497D
	v_cndmask_b32_e64 v37, v125, v37, s[60:61]                 // 000000006B68: D1000025 00F24B7D
	v_cndmask_b32_e64 v38, v125, v38, s[60:61]                 // 000000006B70: D1000026 00F24D7D
	v_cndmask_b32_e64 v39, v125, v39, s[60:61]                 // 000000006B78: D1000027 00F24F7D
	s_branch label_0AF0                                        // 000000006B80: BF820005

0000000000006b84 <label_0AEB>:
	v_mov_b32_e32 v36, v125                                    // 000000006B84: 7E48037D
	v_mov_b32_e32 v37, v125                                    // 000000006B88: 7E4A037D
	v_mov_b32_e32 v38, v125                                    // 000000006B8C: 7E4C037D
	v_mov_b32_e32 v39, v125                                    // 000000006B90: 7E4E037D
	s_branch label_0AF0                                        // 000000006B94: BF820000

0000000000006b98 <label_0AF0>:
	s_addk_i32 s74, 0x1                                        // 000000006B98: B74A0001
	s_waitcnt lgkmcnt(8)                                       // 000000006B9C: BF8CC87F
	v_mfma_f32_16x16x32_f16 v[56:59], v[72:75], a[48:51], 0    // 000000006BA0: D3D40038 12026148
	v_exp_f32_e32 v24, v24                                     // 000000006BA8: 7E304118
	v_exp_f32_e32 v25, v25                                     // 000000006BAC: 7E324119
	v_mfma_f32_16x16x32_f16 v[56:59], v[76:79], a[52:55], v[56:59]// 000000006BB0: D3D40038 14E2694C
	v_exp_f32_e32 v26, v26                                     // 000000006BB8: 7E34411A
	v_exp_f32_e32 v27, v27                                     // 000000006BBC: 7E36411B
	v_mfma_f32_16x16x32_f16 v[56:59], v[80:83], a[56:59], v[56:59]// 000000006BC0: D3D40038 14E27150
	ds_read_b64_tr_b16 a[112:113], v10 offset:4096             // 000000006BC8: DBC61000 7000000A
	ds_read_b64_tr_b16 a[114:115], v10 offset:4352             // 000000006BD0: DBC61100 7200000A
	v_mfma_f32_16x16x32_f16 v[56:59], v[84:87], a[60:63], v[56:59]// 000000006BD8: D3D40038 14E27954
	v_fma_f32 v36, v36, s57, -v104                             // 000000006BE0: D1CB0024 85A07324
	v_fma_f32 v37, v37, s57, -v105                             // 000000006BE8: D1CB0025 85A47325
	v_exp_f32_e32 v28, v28                                     // 000000006BF0: 7E38411C
	v_exp_f32_e32 v29, v29                                     // 000000006BF4: 7E3A411D
	v_mfma_f32_16x16x32_f16 v[60:63], v[72:75], a[64:67], 0    // 000000006BF8: D3D4003C 12028148
	ds_read_b64_tr_b16 a[116:117], v10 offset:5120             // 000000006C00: DBC61400 7400000A
	ds_read_b64_tr_b16 a[118:119], v10 offset:5376             // 000000006C08: DBC61500 7600000A
	v_mfma_f32_16x16x32_f16 v[60:63], v[76:79], a[68:71], v[60:63]// 000000006C10: D3D4003C 14F2894C
	v_fma_f32 v38, v38, s57, -v106                             // 000000006C18: D1CB0026 85A87326
	v_fma_f32 v39, v39, s57, -v107                             // 000000006C20: D1CB0027 85AC7327
	v_exp_f32_e32 v30, v30                                     // 000000006C28: 7E3C411E
	v_exp_f32_e32 v31, v31                                     // 000000006C2C: 7E3E411F
	v_mfma_f32_16x16x32_f16 v[60:63], v[80:83], a[72:75], v[60:63]// 000000006C30: D3D4003C 14F29150
	v_exp_f32_e32 v32, v32                                     // 000000006C38: 7E404120
	v_exp_f32_e32 v33, v33                                     // 000000006C3C: 7E424121
	v_mfma_f32_16x16x32_f16 v[60:63], v[84:87], a[76:79], v[60:63]// 000000006C40: D3D4003C 14F29954
	v_cvt_pk_f16_f32 v116, v24, v25                            // 000000006C48: D2670074 00023318
	v_cvt_pk_f16_f32 v117, v26, v27                            // 000000006C50: D2670075 0002371A
	v_exp_f32_e32 v34, v34                                     // 000000006C58: 7E444122
	v_mfma_f32_16x16x32_f16 v[64:67], v[72:75], a[80:83], 0    // 000000006C5C: D3D40040 1202A148
	v_exp_f32_e32 v35, v35                                     // 000000006C64: 7E464123
	v_exp_f32_e32 v36, v36                                     // 000000006C68: 7E484124
	v_mfma_f32_16x16x32_f16 v[64:67], v[76:79], a[84:87], v[64:67]// 000000006C6C: D3D40040 1502A94C
	v_cvt_pk_f16_f32 v118, v28, v29                            // 000000006C74: D2670076 00023B1C
	v_cvt_pk_f16_f32 v119, v30, v31                            // 000000006C7C: D2670077 00023F1E
	v_exp_f32_e32 v37, v37                                     // 000000006C84: 7E4A4125
	v_mfma_f32_16x16x32_f16 v[64:67], v[80:83], a[88:91], v[64:67]// 000000006C88: D3D40040 1502B150
	ds_read_b64_tr_b16 a[120:121], v10 offset:6144             // 000000006C90: DBC61800 7800000A
	ds_read_b64_tr_b16 a[122:123], v10 offset:6400             // 000000006C98: DBC61900 7A00000A
	v_mfma_f32_16x16x32_f16 v[64:67], v[84:87], a[92:95], v[64:67]// 000000006CA0: D3D40040 1502B954
	v_exp_f32_e32 v38, v38                                     // 000000006CA8: 7E4C4126
	v_exp_f32_e32 v39, v39                                     // 000000006CAC: 7E4E4127
	v_permlane16_swap_b32_e32 v116, v118                       // 000000006CB0: 7EE8B376
	v_mfma_f32_16x16x32_f16 v[68:71], v[72:75], a[96:99], 0    // 000000006CB4: D3D40044 1202C148
	ds_read_b64_tr_b16 a[124:125], v10 offset:7168             // 000000006CBC: DBC61C00 7C00000A
	ds_read_b64_tr_b16 a[126:127], v10 offset:7424             // 000000006CC4: DBC61D00 7E00000A
	v_mfma_f32_16x16x32_f16 v[68:71], v[76:79], a[100:103], v[68:71]// 000000006CCC: D3D40044 1512C94C
	v_cvt_pk_f16_f32 v120, v32, v33                            // 000000006CD4: D2670078 00024320
	v_cvt_pk_f16_f32 v121, v34, v35                            // 000000006CDC: D2670079 00024722
	v_cvt_pk_f16_f32 v122, v36, v37                            // 000000006CE4: D267007A 00024B24
	v_cvt_pk_f16_f32 v123, v38, v39                            // 000000006CEC: D267007B 00024F26
	v_permlane16_swap_b32_e32 v117, v119                       // 000000006CF4: 7EEAB377
	v_mfma_f32_16x16x32_f16 v[68:71], v[80:83], a[104:107], v[68:71]// 000000006CF8: D3D40044 1512D150
	v_permlane16_swap_b32_e32 v120, v122                       // 000000006D00: 7EF0B37A
	v_mfma_f32_16x16x32_f16 v[68:71], v[84:87], a[108:111], v[68:71]// 000000006D04: D3D40044 1512D954
	v_permlane16_swap_b32_e32 v121, v123                       // 000000006D0C: 7EF2B37B
	s_waitcnt lgkmcnt(8)                                       // 000000006D10: BF8CC87F
	v_mfma_f32_32x32x16_f16 v[126:141], v[88:91], v[116:119], v[126:141]// 000000006D14: D3D5007E 05FAE958
	ds_read_b64_tr_b16 a[0:1], v15                             // 000000006D1C: DBC60000 0000000F
	ds_read_b64_tr_b16 a[2:3], v15 offset:256                  // 000000006D24: DBC60100 0200000F
	ds_read_b64_tr_b16 a[4:5], v16                             // 000000006D2C: DBC60000 04000010
	ds_read_b64_tr_b16 a[6:7], v16 offset:256                  // 000000006D34: DBC60100 06000010
	buffer_atomic_add_f32 v110, v6, s[32:35], 0 offen          // 000000006D3C: E1341000 80086E06
	v_mfma_f32_32x32x16_f16 v[142:157], v[92:95], v[116:119], v[142:157]// 000000006D44: D3D5008E 063AE95C
	v_subrev_f32_dpp v56, v124, v56 quad_perm:[0,0,0,0] row_mask:0xf bank_mask:0xf// 000000006D4C: 067070FA FF00007C
	v_subrev_f32_dpp v57, v124, v57 quad_perm:[1,1,1,1] row_mask:0xf bank_mask:0xf// 000000006D54: 067272FA FF00557C
	v_subrev_f32_dpp v58, v124, v58 quad_perm:[2,2,2,2] row_mask:0xf bank_mask:0xf// 000000006D5C: 067474FA FF00AA7C
	v_subrev_f32_dpp v59, v124, v59 quad_perm:[3,3,3,3] row_mask:0xf bank_mask:0xf// 000000006D64: 067676FA FF00FF7C
	v_subrev_f32_dpp v60, v124, v60 quad_perm:[0,0,0,0] row_mask:0xf bank_mask:0xf// 000000006D6C: 067878FA FF00007C
	v_subrev_f32_dpp v61, v124, v61 quad_perm:[1,1,1,1] row_mask:0xf bank_mask:0xf// 000000006D74: 067A7AFA FF00557C
	v_subrev_f32_dpp v62, v124, v62 quad_perm:[2,2,2,2] row_mask:0xf bank_mask:0xf// 000000006D7C: 067C7CFA FF00AA7C
	v_subrev_f32_dpp v63, v124, v63 quad_perm:[3,3,3,3] row_mask:0xf bank_mask:0xf// 000000006D84: 067E7EFA FF00FF7C
	v_mul_f32_e32 v56, v24, v56                                // 000000006D8C: 0A707118
	v_mul_f32_e32 v57, v25, v57                                // 000000006D90: 0A727319
	v_mfma_f32_32x32x16_f16 v[158:173], v[96:99], v[116:119], v[158:173]// 000000006D94: D3D5009E 067AE960
	ds_read_b64_tr_b16 a[8:9], v15 offset:8192                 // 000000006D9C: DBC62000 0800000F
	ds_read_b64_tr_b16 a[10:11], v15 offset:8448               // 000000006DA4: DBC62100 0A00000F
	ds_read_b64_tr_b16 a[12:13], v16 offset:8192               // 000000006DAC: DBC62000 0C000010
	ds_read_b64_tr_b16 a[14:15], v16 offset:8448               // 000000006DB4: DBC62100 0E000010
	v_mfma_f32_32x32x16_f16 v[174:189], v[100:103], v[116:119], v[174:189]// 000000006DBC: D3D500AE 06BAE964
	v_mul_f32_e32 v58, v26, v58                                // 000000006DC4: 0A74751A
	v_mul_f32_e32 v59, v27, v59                                // 000000006DC8: 0A76771B
	v_mul_f32_e32 v60, v28, v60                                // 000000006DCC: 0A78791C
	v_mul_f32_e32 v61, v29, v61                                // 000000006DD0: 0A7A7B1D
	v_mul_f32_e32 v62, v30, v62                                // 000000006DD4: 0A7C7D1E
	v_mul_f32_e32 v63, v31, v63                                // 000000006DD8: 0A7E7F1F
	v_cvt_pk_f16_f32 v56, v56, v57                             // 000000006DDC: D2670038 00027338
	v_cvt_pk_f16_f32 v57, v58, v59                             // 000000006DE4: D2670039 0002773A
	v_cvt_pk_f16_f32 v58, v60, v61                             // 000000006DEC: D267003A 00027B3C
	v_cvt_pk_f16_f32 v59, v62, v63                             // 000000006DF4: D267003B 00027F3E
	v_subrev_f32_dpp v64, v124, v64 quad_perm:[0,0,0,0] row_mask:0xf bank_mask:0xf// 000000006DFC: 068080FA FF00007C
	v_subrev_f32_dpp v65, v124, v65 quad_perm:[1,1,1,1] row_mask:0xf bank_mask:0xf// 000000006E04: 068282FA FF00557C
	v_subrev_f32_dpp v66, v124, v66 quad_perm:[2,2,2,2] row_mask:0xf bank_mask:0xf// 000000006E0C: 068484FA FF00AA7C
	v_subrev_f32_dpp v67, v124, v67 quad_perm:[3,3,3,3] row_mask:0xf bank_mask:0xf// 000000006E14: 068686FA FF00FF7C
	v_mfma_f32_32x32x16_f16 v[190:205], v[88:91], v[120:123], v[190:205]// 000000006E1C: D3D500BE 06FAF158
	ds_read_b64_tr_b16 a[16:17], v15 offset:16384              // 000000006E24: DBC64000 1000000F
	ds_read_b64_tr_b16 a[18:19], v15 offset:16640              // 000000006E2C: DBC64100 1200000F
	ds_write_b64 v12, v[56:57] offset:32768                    // 000000006E34: D89A8000 0000380C
	ds_write_b64 v12, v[58:59] offset:35072                    // 000000006E3C: D89A8900 00003A0C
	buffer_atomic_add_f32 v111, v7, s[32:35], 0 offen          // 000000006E44: E1341000 80086F07
	v_mfma_f32_32x32x16_f16 v[206:221], v[92:95], v[120:123], v[206:221]// 000000006E4C: D3D500CE 073AF15C
	v_subrev_f32_dpp v68, v124, v68 quad_perm:[0,0,0,0] row_mask:0xf bank_mask:0xf// 000000006E54: 068888FA FF00007C
	v_subrev_f32_dpp v69, v124, v69 quad_perm:[1,1,1,1] row_mask:0xf bank_mask:0xf// 000000006E5C: 068A8AFA FF00557C
	v_subrev_f32_dpp v70, v124, v70 quad_perm:[2,2,2,2] row_mask:0xf bank_mask:0xf// 000000006E64: 068C8CFA FF00AA7C
	v_subrev_f32_dpp v71, v124, v71 quad_perm:[3,3,3,3] row_mask:0xf bank_mask:0xf// 000000006E6C: 068E8EFA FF00FF7C
	v_mul_f32_e32 v64, v32, v64                                // 000000006E74: 0A808120
	v_mul_f32_e32 v65, v33, v65                                // 000000006E78: 0A828321
	v_mul_f32_e32 v66, v34, v66                                // 000000006E7C: 0A848522
	v_mul_f32_e32 v67, v35, v67                                // 000000006E80: 0A868723
	v_mul_f32_e32 v68, v36, v68                                // 000000006E84: 0A888924
	v_mul_f32_e32 v69, v37, v69                                // 000000006E88: 0A8A8B25
	v_mul_f32_e32 v70, v38, v70                                // 000000006E8C: 0A8C8D26
	v_mul_f32_e32 v71, v39, v71                                // 000000006E90: 0A8E8F27
	v_cvt_pk_f16_f32 v60, v64, v65                             // 000000006E94: D267003C 00028340
	v_cvt_pk_f16_f32 v61, v66, v67                             // 000000006E9C: D267003D 00028742
	v_cvt_pk_f16_f32 v62, v68, v69                             // 000000006EA4: D267003E 00028B44
	v_cvt_pk_f16_f32 v63, v70, v71                             // 000000006EAC: D267003F 00028F46
	v_mfma_f32_32x32x16_f16 v[222:237], v[96:99], v[120:123], v[222:237]// 000000006EB4: D3D500DE 077AF160
	ds_read_b32 v104, v13 offset:43008                         // 000000006EBC: D86CA800 6800000D
	ds_read_b32 v124, v13 offset:43264                         // 000000006EC4: D86CA900 7C00000D
	ds_write_b64 v12, v[60:61] offset:37376                    // 000000006ECC: D89A9200 00003C0C
	ds_write_b64 v12, v[62:63] offset:39680                    // 000000006ED4: D89A9B00 00003E0C
	v_mfma_f32_32x32x16_f16 v[238:253], v[100:103], v[120:123], v[238:253]// 000000006EDC: D3D500EE 07BAF164
	v_permlane16_swap_b32_e32 v56, v58                         // 000000006EE4: 7E70B33A
	v_permlane16_swap_b32_e32 v57, v59                         // 000000006EE8: 7E72B33B
	s_nop 1                                                    // 000000006EEC: BF800001
	s_waitcnt lgkmcnt(12)                                      // 000000006EF0: BF8CCC7F
	v_mfma_f32_32x32x16_f16 a[128:143], a[112:115], v[56:59], a[128:143]// 000000006EF4: D3D58080 0E027170
	ds_read_b64_tr_b16 a[20:21], v16 offset:16384              // 000000006EFC: DBC64000 14000010
	ds_read_b64_tr_b16 a[22:23], v16 offset:16640              // 000000006F04: DBC64100 16000010
	ds_read_b64_tr_b16 a[24:25], v15 offset:24576              // 000000006F0C: DBC66000 1800000F
	ds_read_b64_tr_b16 a[26:27], v15 offset:24832              // 000000006F14: DBC66100 1A00000F
	ds_read_b64_tr_b16 a[28:29], v16 offset:24576              // 000000006F1C: DBC66000 1C000010
	ds_read_b64_tr_b16 a[30:31], v16 offset:24832              // 000000006F24: DBC66100 1E000010
	ds_read_b64_tr_b16 a[32:33], v15 offset:32768              // 000000006F2C: DBC68000 2000000F
	ds_read_b64_tr_b16 a[34:35], v15 offset:33024              // 000000006F34: DBC68100 2200000F
	v_mfma_f32_32x32x16_f16 a[144:159], a[116:119], v[56:59], a[144:159]// 000000006F3C: D3D58090 0E427174
	v_permlane16_swap_b32_e32 v60, v62                         // 000000006F44: 7E78B33E
	buffer_atomic_add_f32 v112, v4, s[32:35], 0 offen offset:64// 000000006F48: E1341040 80087004
	s_waitcnt lgkmcnt(8)                                       // 000000006F50: BF8CC87F
	s_barrier                                                  // 000000006F54: BF8A0000
	v_mfma_f32_32x32x16_f16 a[160:175], a[120:123], v[56:59], a[160:175]// 000000006F58: D3D580A0 0E827178
	ds_read_b64_tr_b16 v[24:25], v11 offset:32768              // 000000006F60: D9C68000 1800000B
	ds_read_b64_tr_b16 v[26:27], v11 offset:32800              // 000000006F68: D9C68020 1A00000B
	ds_read_b64_tr_b16 v[28:29], v11 offset:33920              // 000000006F70: D9C68480 1C00000B
	ds_read_b64_tr_b16 v[30:31], v11 offset:33952              // 000000006F78: D9C684A0 1E00000B
	ds_read_b64_tr_b16 v[32:33], v11 offset:35072              // 000000006F80: D9C68900 2000000B
	ds_read_b64_tr_b16 v[34:35], v11 offset:35104              // 000000006F88: D9C68920 2200000B
	ds_read_b64_tr_b16 v[36:37], v11 offset:36224              // 000000006F90: D9C68D80 2400000B
	ds_read_b64_tr_b16 v[38:39], v11 offset:36256              // 000000006F98: D9C68DA0 2600000B
	v_mfma_f32_32x32x16_f16 a[176:191], a[124:127], v[56:59], a[176:191]// 000000006FA0: D3D580B0 0EC2717C
	v_permlane16_swap_b32_e32 v61, v63                         // 000000006FA8: 7E7AB33F
	v_mul_f32_e32 v104, s48, v104                              // 000000006FAC: 0AD0D030
	buffer_atomic_add_f32 v113, v5, s[32:35], 0 offen offset:64// 000000006FB0: E1341040 80087105
	v_mfma_f32_32x32x16_f16 a[192:207], a[112:115], v[60:63], a[192:207]// 000000006FB8: D3D580C0 0F027970
	ds_read_b64_tr_b16 v[40:41], v11 offset:37376              // 000000006FC0: D9C69200 2800000B
	ds_read_b64_tr_b16 v[42:43], v11 offset:37408              // 000000006FC8: D9C69220 2A00000B
	ds_read_b64_tr_b16 v[44:45], v11 offset:38528              // 000000006FD0: D9C69680 2C00000B
	ds_read_b64_tr_b16 v[46:47], v11 offset:38560              // 000000006FD8: D9C696A0 2E00000B
	ds_read_b64_tr_b16 a[36:37], v16 offset:32768              // 000000006FE0: DBC68000 24000010
	ds_read_b64_tr_b16 a[38:39], v16 offset:33024              // 000000006FE8: DBC68100 26000010
	ds_read_b64_tr_b16 a[40:41], v15 offset:40960              // 000000006FF0: DBC6A000 2800000F
	ds_read_b64_tr_b16 a[42:43], v15 offset:41216              // 000000006FF8: DBC6A100 2A00000F
	v_mfma_f32_32x32x16_f16 a[208:223], a[116:119], v[60:63], a[208:223]// 000000007000: D3D580D0 0F427974
	v_mov_b32_dpp v107, v104 quad_perm:[3,3,3,3] row_mask:0xf bank_mask:0xf// 000000007008: 7ED602FA FF00FF68
	v_mov_b32_dpp v106, v104 quad_perm:[2,2,2,2] row_mask:0xf bank_mask:0xf// 000000007010: 7ED402FA FF00AA68
	buffer_atomic_add_f32 v114, v6, s[32:35], 0 offen offset:64// 000000007018: E1341040 80087206
	v_mfma_f32_32x32x16_f16 a[224:239], a[120:123], v[60:63], a[224:239]// 000000007020: D3D580E0 0F827978
	ds_read_b64_tr_b16 v[48:49], v11 offset:39680              // 000000007028: D9C69B00 3000000B
	ds_read_b64_tr_b16 v[50:51], v11 offset:39712              // 000000007030: D9C69B20 3200000B
	ds_read_b64_tr_b16 v[52:53], v11 offset:40832              // 000000007038: D9C69F80 3400000B
	ds_read_b64_tr_b16 v[54:55], v11 offset:40864              // 000000007040: D9C69FA0 3600000B
	ds_read_b64_tr_b16 a[44:45], v16 offset:40960              // 000000007048: DBC6A000 2C000010
	ds_read_b64_tr_b16 a[46:47], v16 offset:41216              // 000000007050: DBC6A100 2E000010
	v_mfma_f32_32x32x16_f16 a[240:255], a[124:127], v[60:63], a[240:255]// 000000007058: D3D580F0 0FC2797C
	v_mov_b32_dpp v105, v104 quad_perm:[1,1,1,1] row_mask:0xf bank_mask:0xf// 000000007060: 7ED202FA FF005568
	v_mov_b32_dpp v104, v104 quad_perm:[0,0,0,0] row_mask:0xf bank_mask:0xf// 000000007068: 7ED002FA FF000068
	buffer_atomic_add_f32 v115, v7, s[32:35], 0 offen offset:64// 000000007070: E1341040 80087307
	s_waitcnt vmcnt(8) lgkmcnt(6)                              // 000000007078: BF8C0678
	s_barrier                                                  // 00000000707C: BF8A0000
	v_mfma_f32_16x16x32_f16 v[108:111], v[24:27], a[0:3], 0    // 000000007080: D3D4006C 12020118
	ds_read_b64_tr_b16 v[56:57], v15 offset:49152              // 000000007088: D9C6C000 3800000F
	ds_read_b64_tr_b16 v[58:59], v15 offset:49408              // 000000007090: D9C6C100 3A00000F
	ds_read_b64_tr_b16 v[60:61], v16 offset:49152              // 000000007098: D9C6C000 3C000010
	ds_read_b64_tr_b16 v[62:63], v16 offset:49408              // 0000000070A0: D9C6C100 3E000010
	v_mfma_f32_16x16x32_f16 v[108:111], v[28:31], a[8:11], v[108:111]// 0000000070A8: D3D4006C 15B2111C
	s_mov_b32 m0, s82                                          // 0000000070B0: BEFC0052
	buffer_load_dwordx4 v1, s[8:11], 0 idxen lds               // 0000000070B4: E05D2000 80020001
	v_mfma_f32_16x16x32_f16 v[108:111], v[32:35], a[16:19], v[108:111]// 0000000070BC: D3D4006C 15B22120
	ds_read_b64_tr_b16 v[64:65], v15 offset:57344              // 0000000070C4: D9C6E000 4000000F
	ds_read_b64_tr_b16 v[66:67], v15 offset:57600              // 0000000070CC: D9C6E100 4200000F
	ds_read_b64_tr_b16 v[68:69], v16 offset:57344              // 0000000070D4: D9C6E000 44000010
	ds_read_b64_tr_b16 v[70:71], v16 offset:57600              // 0000000070DC: D9C6E100 46000010
	v_mfma_f32_16x16x32_f16 v[108:111], v[36:39], a[24:27], v[108:111]// 0000000070E4: D3D4006C 15B23124
	s_mov_b32 m0, s86                                          // 0000000070EC: BEFC0056
	buffer_load_dwordx4 v254, s[20:23], 0 idxen lds            // 0000000070F0: E05D2000 800500FE
	v_mfma_f32_16x16x32_f16 v[108:111], v[40:43], a[32:35], v[108:111]// 0000000070F8: D3D4006C 15B24128
	ds_read_b128 a[112:115], v9 offset:8192                    // 000000007100: DBFE2000 70000009
	ds_read_b128 a[116:119], v9 offset:9216                    // 000000007108: DBFE2400 74000009
	v_mfma_f32_16x16x32_f16 v[108:111], v[44:47], a[40:43], v[108:111]// 000000007110: D3D4006C 15B2512C
	s_mov_b32 m0, s78                                          // 000000007118: BEFC004E
	buffer_load_dword v8, s[24:27], 0 idxen lds                // 00000000711C: E0512000 80060008
	s_waitcnt lgkmcnt(4)                                       // 000000007124: BF8CC47F
	s_barrier                                                  // 000000007128: BF8A0000
	v_mfma_f32_16x16x32_f16 v[108:111], v[48:51], v[56:59], v[108:111]// 00000000712C: D3D4006C 05B27130
	ds_read_b128 a[120:123], v9 offset:10240                   // 000000007134: DBFE2800 78000009
	ds_read_b128 a[124:127], v9 offset:11264                   // 00000000713C: DBFE2C00 7C000009
	v_mfma_f32_16x16x32_f16 v[108:111], v[52:55], v[64:67], v[108:111]// 000000007144: D3D4006C 05B28134
	s_add_u32 s60, 64, s59                                     // 00000000714C: 803C3BC0
	s_cmp_lt_u32 s60, s58                                      // 000000007150: BF0A3A3C
	s_cselect_b32 s68, s68, 0                                  // 000000007154: 85448044
	s_cselect_b32 s98, s98, 0                                  // 000000007158: 85628062
	s_cselect_b32 s69, s69, 0                                  // 00000000715C: 85458045
	v_mfma_f32_16x16x32_f16 v[112:115], v[24:27], a[4:7], 0    // 000000007160: D3D40070 12020918
	ds_read_b128 a[0:3], v14                                   // 000000007168: DBFE0000 0000000E
	ds_read_b128 a[4:7], v14 offset:1024                       // 000000007170: DBFE0400 0400000E
	v_mfma_f32_16x16x32_f16 v[112:115], v[28:31], a[12:15], v[112:115]// 000000007178: D3D40070 15C2191C
	v_add_u32_e32 v1, s68, v1                                  // 000000007180: 68020244
	v_add_u32_e32 v254, s98, v254                              // 000000007184: 69FDFC62
	v_add_u32_e32 v8, s69, v8                                  // 000000007188: 68101045
	v_mfma_f32_16x16x32_f16 v[112:115], v[32:35], a[20:23], v[112:115]// 00000000718C: D3D40070 15C22920
	ds_read_b128 a[8:11], v14 offset:2048                      // 000000007194: DBFE0800 0800000E
	ds_read_b128 a[12:15], v14 offset:3072                     // 00000000719C: DBFE0C00 0C00000E
	v_mfma_f32_16x16x32_f16 v[112:115], v[36:39], a[28:31], v[112:115]// 0000000071A4: D3D40070 15C23924
	v_mul_f32_e32 v108, s47, v108                              // 0000000071AC: 0AD8D82F
	v_mul_f32_e32 v109, s47, v109                              // 0000000071B0: 0ADADA2F
	v_mfma_f32_16x16x32_f16 v[112:115], v[40:43], a[36:39], v[112:115]// 0000000071B4: D3D40070 15C24928
	ds_read_b128 a[16:19], v14 offset:16384                    // 0000000071BC: DBFE4000 1000000E
	ds_read_b128 a[20:23], v14 offset:17408                    // 0000000071C4: DBFE4400 1400000E
	v_mfma_f32_16x16x32_f16 v[112:115], v[44:47], a[44:47], v[112:115]// 0000000071CC: D3D40070 15C2592C
	v_mul_f32_e32 v110, s47, v110                              // 0000000071D4: 0ADCDC2F
	s_cmp_ge_u32 s59, s73                                      // 0000000071D8: BF09493B
	s_cselect_b32 s66, s67, s66                                // 0000000071DC: 85424243
	s_waitcnt lgkmcnt(10)                                      // 0000000071E0: BF8CCA7F
	v_mfma_f32_16x16x32_f16 v[112:115], v[48:51], v[60:63], v[112:115]// 0000000071E4: D3D40070 05C27930
	ds_read_b128 a[24:27], v14 offset:18432                    // 0000000071EC: DBFE4800 1800000E
	ds_read_b128 a[28:31], v14 offset:19456                    // 0000000071F4: DBFE4C00 1C00000E
	v_mfma_f32_16x16x32_f16 v[112:115], v[52:55], v[68:71], v[112:115]// 0000000071FC: D3D40070 05C28934
	s_addk_i32 s59, 0x10                                       // 000000007204: B73B0010
	v_mul_f32_e32 v111, s47, v111                              // 000000007208: 0ADEDE2F
	s_cmp_lt_i32 s59, s58                                      // 00000000720C: BF043A3B
	s_cbranch_scc0 label_12CC                                  // 000000007210: BF840633
	s_waitcnt lgkmcnt(2)                                       // 000000007214: BF8CC27F
	v_mfma_f32_16x16x32_f16 v[24:27], a[112:115], a[0:3], 0    // 000000007218: D3D40018 1A020170
	ds_read_b128 a[32:35], v14 offset:32768                    // 000000007220: DBFE8000 2000000E
	ds_read_b128 a[36:39], v14 offset:33792                    // 000000007228: DBFE8400 2400000E
	v_mfma_f32_16x16x32_f16 v[24:27], a[116:119], a[4:7], v[24:27]// 000000007230: D3D40018 1C620974
	v_add_u32_e32 v4, s66, v4                                  // 000000007238: 68080842
	v_add_u32_e32 v5, s66, v5                                  // 00000000723C: 680A0A42
	v_add_u32_e32 v6, s66, v6                                  // 000000007240: 680C0C42
	v_add_u32_e32 v7, s66, v7                                  // 000000007244: 680E0E42
	v_mfma_f32_16x16x32_f16 v[24:27], a[120:123], a[8:11], v[24:27]// 000000007248: D3D40018 1C621178
	ds_read_b128 a[40:43], v14 offset:34816                    // 000000007250: DBFE8800 2800000E
	ds_read_b128 a[44:47], v14 offset:35840                    // 000000007258: DBFE8C00 2C00000E
	v_mfma_f32_16x16x32_f16 v[24:27], a[124:127], a[12:15], v[24:27]// 000000007260: D3D40018 1C62197C
	v_mul_f32_e32 v112, s47, v112                              // 000000007268: 0AE0E02F
	v_mul_f32_e32 v113, s47, v113                              // 00000000726C: 0AE2E22F
	v_mfma_f32_16x16x32_f16 v[28:31], a[112:115], a[16:19], 0  // 000000007270: D3D4001C 1A022170
	ds_read_b128 v[56:59], v14 offset:49152                    // 000000007278: D9FEC000 3800000E
	ds_read_b128 v[60:63], v14 offset:50176                    // 000000007280: D9FEC400 3C00000E
	v_mfma_f32_16x16x32_f16 v[28:31], a[116:119], a[20:23], v[28:31]// 000000007288: D3D4001C 1C722974
	v_mul_f32_e32 v114, s47, v114                              // 000000007290: 0AE4E42F
	v_mul_f32_e32 v115, s47, v115                              // 000000007294: 0AE6E62F
	s_waitcnt lgkmcnt(6)                                       // 000000007298: BF8CC67F
	v_mfma_f32_16x16x32_f16 v[28:31], a[120:123], a[24:27], v[28:31]// 00000000729C: D3D4001C 1C723178
	ds_read_b128 v[64:67], v14 offset:51200                    // 0000000072A4: D9FEC800 4000000E
	ds_read_b128 v[68:71], v14 offset:52224                    // 0000000072AC: D9FECC00 4400000E
	v_mfma_f32_16x16x32_f16 v[28:31], a[124:127], a[28:31], v[28:31]// 0000000072B4: D3D4001C 1C72397C
	v_fma_f32 v24, v24, s57, -v104                             // 0000000072BC: D1CB0018 85A07318
	v_fma_f32 v25, v25, s57, -v105                             // 0000000072C4: D1CB0019 85A47319
	s_waitcnt lgkmcnt(6)                                       // 0000000072CC: BF8CC67F
	v_mfma_f32_16x16x32_f16 v[32:35], a[112:115], a[32:35], 0  // 0000000072D0: D3D40020 1A024170
	ds_read_b128 v[72:75], v9 offset:24576                     // 0000000072D8: D9FE6000 48000009
	ds_read_b128 v[76:79], v9 offset:25600                     // 0000000072E0: D9FE6400 4C000009
	v_mfma_f32_16x16x32_f16 v[32:35], a[116:119], a[36:39], v[32:35]// 0000000072E8: D3D40020 1C824974
	v_fma_f32 v26, v26, s57, -v106                             // 0000000072F0: D1CB001A 85A8731A
	v_fma_f32 v27, v27, s57, -v107                             // 0000000072F8: D1CB001B 85AC731B
	buffer_atomic_add_f32 v108, v4, s[32:35], 0 offen          // 000000007300: E1341000 80086C04
	s_waitcnt lgkmcnt(6)                                       // 000000007308: BF8CC67F
	v_mfma_f32_16x16x32_f16 v[32:35], a[120:123], a[40:43], v[32:35]// 00000000730C: D3D40020 1C825178
	ds_read_b128 v[80:83], v9 offset:26624                     // 000000007314: D9FE6800 50000009
	ds_read_b128 v[84:87], v9 offset:27648                     // 00000000731C: D9FE6C00 54000009
	v_mfma_f32_16x16x32_f16 v[32:35], a[124:127], a[44:47], v[32:35]// 000000007324: D3D40020 1C82597C
	v_fma_f32 v28, v28, s57, -v104                             // 00000000732C: D1CB001C 85A0731C
	v_fma_f32 v29, v29, s57, -v105                             // 000000007334: D1CB001D 85A4731D
	s_waitcnt lgkmcnt(6)                                       // 00000000733C: BF8CC67F
	v_mfma_f32_16x16x32_f16 v[36:39], a[112:115], v[56:59], 0  // 000000007340: D3D40024 0A027170
	ds_read_b64_tr_b16 v[88:89], v10 offset:24576              // 000000007348: D9C66000 5800000A
	ds_read_b64_tr_b16 v[90:91], v10 offset:24832              // 000000007350: D9C66100 5A00000A
	ds_read_b64_tr_b16 v[92:93], v10 offset:25600              // 000000007358: D9C66400 5C00000A
	ds_read_b64_tr_b16 v[94:95], v10 offset:25856              // 000000007360: D9C66500 5E00000A
	v_mfma_f32_16x16x32_f16 v[36:39], a[116:119], v[60:63], v[36:39]// 000000007368: D3D40024 0C927974
	v_fma_f32 v30, v30, s57, -v106                             // 000000007370: D1CB001E 85A8731E
	v_fma_f32 v31, v31, s57, -v107                             // 000000007378: D1CB001F 85AC731F
	s_waitcnt lgkmcnt(8)                                       // 000000007380: BF8CC87F
	v_mfma_f32_16x16x32_f16 v[36:39], a[120:123], v[64:67], v[36:39]// 000000007384: D3D40024 0C928178
	ds_read_b64_tr_b16 v[96:97], v10 offset:26624              // 00000000738C: D9C66800 6000000A
	ds_read_b64_tr_b16 v[98:99], v10 offset:26880              // 000000007394: D9C66900 6200000A
	ds_read_b64_tr_b16 v[100:101], v10 offset:27648            // 00000000739C: D9C66C00 6400000A
	ds_read_b64_tr_b16 v[102:103], v10 offset:27904            // 0000000073A4: D9C66D00 6600000A
	v_mfma_f32_16x16x32_f16 v[36:39], a[124:127], v[68:71], v[36:39]// 0000000073AC: D3D40024 0C92897C
	v_fma_f32 v32, v32, s57, -v104                             // 0000000073B4: D1CB0020 85A07320
	v_fma_f32 v33, v33, s57, -v105                             // 0000000073BC: D1CB0021 85A47321
	v_fma_f32 v34, v34, s57, -v106                             // 0000000073C4: D1CB0022 85A87322
	v_fma_f32 v35, v35, s57, -v107                             // 0000000073CC: D1CB0023 85AC7323
	buffer_atomic_add_f32 v109, v5, s[32:35], 0 offen          // 0000000073D4: E1341000 80086D05
	s_cmp_lt_i32 s74, 16                                       // 0000000073DC: BF04904A
	s_cbranch_scc0 label_0D9D                                  // 0000000073E0: BF84009A
	s_mov_b32 s60, 0xffe0fffe                                  // 0000000073E4: BEBC00FF FFE0FFFE
	s_mov_b32 s61, 0xe000fe00                                  // 0000000073EC: BEBD00FF E000FE00
	s_nop 0                                                    // 0000000073F4: BF800000
	s_add_u32 s62, 0, s46                                      // 0000000073F8: 803E2E80
	s_cmp_lt_i32 s74, s62                                      // 0000000073FC: BF043E4A
	s_cbranch_scc1 label_0D38                                  // 000000007400: BF85002D
	s_cmp_eq_i32 s74, s62                                      // 000000007404: BF003E4A
	s_cbranch_scc1 label_0D1D                                  // 000000007408: BF850010
	s_add_u32 s62, 4, s46                                      // 00000000740C: 803E2E84
	s_cmp_lt_i32 s74, s62                                      // 000000007410: BF043E4A
	s_cbranch_scc1 label_0D58                                  // 000000007414: BF850048
	s_cmp_eq_i32 s74, s62                                      // 000000007418: BF003E4A
	s_cbranch_scc1 label_0D3D                                  // 00000000741C: BF85002B
	s_add_u32 s62, 8, s46                                      // 000000007420: 803E2E88
	s_cmp_lt_i32 s74, s62                                      // 000000007424: BF043E4A
	s_cbranch_scc1 label_0D78                                  // 000000007428: BF850063
	s_cmp_eq_i32 s74, s62                                      // 00000000742C: BF003E4A
	s_cbranch_scc1 label_0D5D                                  // 000000007430: BF850046
	s_add_u32 s62, 12, s46                                     // 000000007434: 803E2E8C
	s_cmp_lt_i32 s74, s62                                      // 000000007438: BF043E4A
	s_cbranch_scc1 label_0D98                                  // 00000000743C: BF85007E
	s_cmp_eq_i32 s74, s62                                      // 000000007440: BF003E4A
	s_cbranch_scc1 label_0D7D                                  // 000000007444: BF850061
	s_branch label_0D9D                                        // 000000007448: BF820080

000000000000744c <label_0D1D>:
	v_cndmask_b32_e64 v24, v24, v125, s[60:61]                 // 00000000744C: D1000018 00F2FB18
	s_lshl_b32 s60, s60, 1                                     // 000000007454: 8E3C813C
	s_lshl_b32 s61, s61, 1                                     // 000000007458: 8E3D813D
	s_and_b32 s60, 0xfffeffff, s60                             // 00000000745C: 863C3CFF FFFEFFFF
	s_and_b32 s61, 0xfffeffff, s61                             // 000000007464: 863D3DFF FFFEFFFF
	v_cndmask_b32_e64 v25, v25, v125, s[60:61]                 // 00000000746C: D1000019 00F2FB19
	s_lshl_b32 s60, s60, 1                                     // 000000007474: 8E3C813C
	s_lshl_b32 s61, s61, 1                                     // 000000007478: 8E3D813D
	s_and_b32 s60, 0xfffeffff, s60                             // 00000000747C: 863C3CFF FFFEFFFF
	s_and_b32 s61, 0xfffeffff, s61                             // 000000007484: 863D3DFF FFFEFFFF
	v_cndmask_b32_e64 v26, v26, v125, s[60:61]                 // 00000000748C: D100001A 00F2FB1A
	s_lshl_b32 s60, s60, 1                                     // 000000007494: 8E3C813C
	s_lshl_b32 s61, s61, 1                                     // 000000007498: 8E3D813D
	s_and_b32 s60, 0xfffeffff, s60                             // 00000000749C: 863C3CFF FFFEFFFF
	s_and_b32 s61, 0xfffeffff, s61                             // 0000000074A4: 863D3DFF FFFEFFFF
	v_cndmask_b32_e64 v27, v27, v125, s[60:61]                 // 0000000074AC: D100001B 00F2FB1B
	s_branch label_0D58                                        // 0000000074B4: BF820020

00000000000074b8 <label_0D38>:
	v_mov_b32_e32 v24, v125                                    // 0000000074B8: 7E30037D
	v_mov_b32_e32 v25, v125                                    // 0000000074BC: 7E32037D
	v_mov_b32_e32 v26, v125                                    // 0000000074C0: 7E34037D
	v_mov_b32_e32 v27, v125                                    // 0000000074C4: 7E36037D
	s_branch label_0D58                                        // 0000000074C8: BF82001B

00000000000074cc <label_0D3D>:
	v_cndmask_b32_e64 v28, v28, v125, s[60:61]                 // 0000000074CC: D100001C 00F2FB1C
	s_lshl_b32 s60, s60, 1                                     // 0000000074D4: 8E3C813C
	s_lshl_b32 s61, s61, 1                                     // 0000000074D8: 8E3D813D
	s_and_b32 s60, 0xfffeffff, s60                             // 0000000074DC: 863C3CFF FFFEFFFF
	s_and_b32 s61, 0xfffeffff, s61                             // 0000000074E4: 863D3DFF FFFEFFFF
	v_cndmask_b32_e64 v29, v29, v125, s[60:61]                 // 0000000074EC: D100001D 00F2FB1D
	s_lshl_b32 s60, s60, 1                                     // 0000000074F4: 8E3C813C
	s_lshl_b32 s61, s61, 1                                     // 0000000074F8: 8E3D813D
	s_and_b32 s60, 0xfffeffff, s60                             // 0000000074FC: 863C3CFF FFFEFFFF
	s_and_b32 s61, 0xfffeffff, s61                             // 000000007504: 863D3DFF FFFEFFFF
	v_cndmask_b32_e64 v30, v30, v125, s[60:61]                 // 00000000750C: D100001E 00F2FB1E
	s_lshl_b32 s60, s60, 1                                     // 000000007514: 8E3C813C
	s_lshl_b32 s61, s61, 1                                     // 000000007518: 8E3D813D
	s_and_b32 s60, 0xfffeffff, s60                             // 00000000751C: 863C3CFF FFFEFFFF
	s_and_b32 s61, 0xfffeffff, s61                             // 000000007524: 863D3DFF FFFEFFFF
	v_cndmask_b32_e64 v31, v31, v125, s[60:61]                 // 00000000752C: D100001F 00F2FB1F
	s_branch label_0D78                                        // 000000007534: BF820020

0000000000007538 <label_0D58>:
	v_mov_b32_e32 v28, v125                                    // 000000007538: 7E38037D
	v_mov_b32_e32 v29, v125                                    // 00000000753C: 7E3A037D
	v_mov_b32_e32 v30, v125                                    // 000000007540: 7E3C037D
	v_mov_b32_e32 v31, v125                                    // 000000007544: 7E3E037D
	s_branch label_0D78                                        // 000000007548: BF82001B

000000000000754c <label_0D5D>:
	v_cndmask_b32_e64 v32, v32, v125, s[60:61]                 // 00000000754C: D1000020 00F2FB20
	s_lshl_b32 s60, s60, 1                                     // 000000007554: 8E3C813C
	s_lshl_b32 s61, s61, 1                                     // 000000007558: 8E3D813D
	s_and_b32 s60, 0xfffeffff, s60                             // 00000000755C: 863C3CFF FFFEFFFF
	s_and_b32 s61, 0xfffeffff, s61                             // 000000007564: 863D3DFF FFFEFFFF
	v_cndmask_b32_e64 v33, v33, v125, s[60:61]                 // 00000000756C: D1000021 00F2FB21
	s_lshl_b32 s60, s60, 1                                     // 000000007574: 8E3C813C
	s_lshl_b32 s61, s61, 1                                     // 000000007578: 8E3D813D
	s_and_b32 s60, 0xfffeffff, s60                             // 00000000757C: 863C3CFF FFFEFFFF
	s_and_b32 s61, 0xfffeffff, s61                             // 000000007584: 863D3DFF FFFEFFFF
	v_cndmask_b32_e64 v34, v34, v125, s[60:61]                 // 00000000758C: D1000022 00F2FB22
	s_lshl_b32 s60, s60, 1                                     // 000000007594: 8E3C813C
	s_lshl_b32 s61, s61, 1                                     // 000000007598: 8E3D813D
	s_and_b32 s60, 0xfffeffff, s60                             // 00000000759C: 863C3CFF FFFEFFFF
	s_and_b32 s61, 0xfffeffff, s61                             // 0000000075A4: 863D3DFF FFFEFFFF
	v_cndmask_b32_e64 v35, v35, v125, s[60:61]                 // 0000000075AC: D1000023 00F2FB23
	s_branch label_0D98                                        // 0000000075B4: BF820020

00000000000075b8 <label_0D78>:
	v_mov_b32_e32 v32, v125                                    // 0000000075B8: 7E40037D
	v_mov_b32_e32 v33, v125                                    // 0000000075BC: 7E42037D
	v_mov_b32_e32 v34, v125                                    // 0000000075C0: 7E44037D
	v_mov_b32_e32 v35, v125                                    // 0000000075C4: 7E46037D
	s_branch label_0D98                                        // 0000000075C8: BF82001B

00000000000075cc <label_0D7D>:
	v_cndmask_b32_e64 v36, v36, v125, s[60:61]                 // 0000000075CC: D1000024 00F2FB24
	s_lshl_b32 s60, s60, 1                                     // 0000000075D4: 8E3C813C
	s_lshl_b32 s61, s61, 1                                     // 0000000075D8: 8E3D813D
	s_and_b32 s60, 0xfffeffff, s60                             // 0000000075DC: 863C3CFF FFFEFFFF
	s_and_b32 s61, 0xfffeffff, s61                             // 0000000075E4: 863D3DFF FFFEFFFF
	v_cndmask_b32_e64 v37, v37, v125, s[60:61]                 // 0000000075EC: D1000025 00F2FB25
	s_lshl_b32 s60, s60, 1                                     // 0000000075F4: 8E3C813C
	s_lshl_b32 s61, s61, 1                                     // 0000000075F8: 8E3D813D
	s_and_b32 s60, 0xfffeffff, s60                             // 0000000075FC: 863C3CFF FFFEFFFF
	s_and_b32 s61, 0xfffeffff, s61                             // 000000007604: 863D3DFF FFFEFFFF
	v_cndmask_b32_e64 v38, v38, v125, s[60:61]                 // 00000000760C: D1000026 00F2FB26
	s_lshl_b32 s60, s60, 1                                     // 000000007614: 8E3C813C
	s_lshl_b32 s61, s61, 1                                     // 000000007618: 8E3D813D
	s_and_b32 s60, 0xfffeffff, s60                             // 00000000761C: 863C3CFF FFFEFFFF
	s_and_b32 s61, 0xfffeffff, s61                             // 000000007624: 863D3DFF FFFEFFFF
	v_cndmask_b32_e64 v39, v39, v125, s[60:61]                 // 00000000762C: D1000027 00F2FB27
	s_branch label_0D9D                                        // 000000007634: BF820005

0000000000007638 <label_0D98>:
	v_mov_b32_e32 v36, v125                                    // 000000007638: 7E48037D
	v_mov_b32_e32 v37, v125                                    // 00000000763C: 7E4A037D
	v_mov_b32_e32 v38, v125                                    // 000000007640: 7E4C037D
	v_mov_b32_e32 v39, v125                                    // 000000007644: 7E4E037D
	s_branch label_0D9D                                        // 000000007648: BF820000

000000000000764c <label_0D9D>:
	s_cmp_lt_i32 s99, 0x100                                    // 00000000764C: BF04FF63 00000100
	s_cbranch_scc0 label_0E0E                                  // 000000007654: BF840069
	s_cmp_le_i32 s99, 64                                       // 000000007658: BF05C063
	s_cbranch_scc1 label_0DAC                                  // 00000000765C: BF85000A
	s_cmp_le_i32 s99, 0x80                                     // 000000007660: BF05FF63 00000080
	s_cbranch_scc1 label_0DC4                                  // 000000007668: BF85001A
	s_cmp_lt_i32 s99, 0xc0                                     // 00000000766C: BF04FF63 000000C0
	s_cbranch_scc1 label_0DDC                                  // 000000007674: BF85002F
	s_cmp_lt_i32 s99, 0x100                                    // 000000007678: BF04FF63 00000100
	s_cbranch_scc1 label_0DF5                                  // 000000007680: BF850045
	s_branch label_0E0E                                        // 000000007684: BF82005D

0000000000007688 <label_0DAC>:
	s_mov_b32 s60, 0                                           // 000000007688: BEBC0080
	v_and_b32_e32 v20, 15, v0                                  // 00000000768C: 2628008F
	v_add_u32_e64 v20, v20, s60                                // 000000007690: D1340014 00007914
	v_mul_i32_i24_e64 v21, s46, 16                             // 000000007698: D1060015 0001202E
	v_add_u32_e32 v20, v20, v21                                // 0000000076A0: 68282B14
	v_cmp_lt_u32_e64 s[60:61], v20, s99                        // 0000000076A4: D0C9003C 0000C714
	s_nop 1                                                    // 0000000076AC: BF800001
	v_cndmask_b32_e64 v24, v125, v24, s[60:61]                 // 0000000076B0: D1000018 00F2317D
	v_cndmask_b32_e64 v25, v125, v25, s[60:61]                 // 0000000076B8: D1000019 00F2337D
	v_cndmask_b32_e64 v26, v125, v26, s[60:61]                 // 0000000076C0: D100001A 00F2357D
	v_cndmask_b32_e64 v27, v125, v27, s[60:61]                 // 0000000076C8: D100001B 00F2377D
	s_branch label_0DD7                                        // 0000000076D0: BF820013

00000000000076d4 <label_0DC4>:
	s_mov_b32 s60, 64                                          // 0000000076D4: BEBC00C0
	v_and_b32_e32 v20, 15, v0                                  // 0000000076D8: 2628008F
	v_add_u32_e64 v20, v20, s60                                // 0000000076DC: D1340014 00007914
	v_mul_i32_i24_e64 v21, s46, 16                             // 0000000076E4: D1060015 0001202E
	v_add_u32_e32 v20, v20, v21                                // 0000000076EC: 68282B14
	v_cmp_lt_u32_e64 s[60:61], v20, s99                        // 0000000076F0: D0C9003C 0000C714
	s_nop 1                                                    // 0000000076F8: BF800001
	v_cndmask_b32_e64 v28, v125, v28, s[60:61]                 // 0000000076FC: D100001C 00F2397D
	v_cndmask_b32_e64 v29, v125, v29, s[60:61]                 // 000000007704: D100001D 00F23B7D
	v_cndmask_b32_e64 v30, v125, v30, s[60:61]                 // 00000000770C: D100001E 00F23D7D
	v_cndmask_b32_e64 v31, v125, v31, s[60:61]                 // 000000007714: D100001F 00F23F7D
	s_branch label_0DF0                                        // 00000000771C: BF820019

0000000000007720 <label_0DD7>:
	v_mov_b32_e32 v28, v125                                    // 000000007720: 7E38037D
	v_mov_b32_e32 v29, v125                                    // 000000007724: 7E3A037D
	v_mov_b32_e32 v30, v125                                    // 000000007728: 7E3C037D
	v_mov_b32_e32 v31, v125                                    // 00000000772C: 7E3E037D
	s_branch label_0DF0                                        // 000000007730: BF820014

0000000000007734 <label_0DDC>:
	s_mov_b32 s60, 0x80                                        // 000000007734: BEBC00FF 00000080
	v_and_b32_e32 v20, 15, v0                                  // 00000000773C: 2628008F
	v_add_u32_e64 v20, v20, s60                                // 000000007740: D1340014 00007914
	v_mul_i32_i24_e64 v21, s46, 16                             // 000000007748: D1060015 0001202E
	v_add_u32_e32 v20, v20, v21                                // 000000007750: 68282B14
	v_cmp_lt_u32_e64 s[60:61], v20, s99                        // 000000007754: D0C9003C 0000C714
	s_nop 1                                                    // 00000000775C: BF800001
	v_cndmask_b32_e64 v32, v125, v32, s[60:61]                 // 000000007760: D1000020 00F2417D
	v_cndmask_b32_e64 v33, v125, v33, s[60:61]                 // 000000007768: D1000021 00F2437D
	v_cndmask_b32_e64 v34, v125, v34, s[60:61]                 // 000000007770: D1000022 00F2457D
	v_cndmask_b32_e64 v35, v125, v35, s[60:61]                 // 000000007778: D1000023 00F2477D
	s_branch label_0E09                                        // 000000007780: BF820019

0000000000007784 <label_0DF0>:
	v_mov_b32_e32 v32, v125                                    // 000000007784: 7E40037D
	v_mov_b32_e32 v33, v125                                    // 000000007788: 7E42037D
	v_mov_b32_e32 v34, v125                                    // 00000000778C: 7E44037D
	v_mov_b32_e32 v35, v125                                    // 000000007790: 7E46037D
	s_branch label_0E09                                        // 000000007794: BF820014

0000000000007798 <label_0DF5>:
	s_mov_b32 s60, 0xc0                                        // 000000007798: BEBC00FF 000000C0
	v_and_b32_e32 v20, 15, v0                                  // 0000000077A0: 2628008F
	v_add_u32_e64 v20, v20, s60                                // 0000000077A4: D1340014 00007914
	v_mul_i32_i24_e64 v21, s46, 16                             // 0000000077AC: D1060015 0001202E
	v_add_u32_e32 v20, v20, v21                                // 0000000077B4: 68282B14
	v_cmp_lt_u32_e64 s[60:61], v20, s99                        // 0000000077B8: D0C9003C 0000C714
	s_nop 1                                                    // 0000000077C0: BF800001
	v_cndmask_b32_e64 v36, v125, v36, s[60:61]                 // 0000000077C4: D1000024 00F2497D
	v_cndmask_b32_e64 v37, v125, v37, s[60:61]                 // 0000000077CC: D1000025 00F24B7D
	v_cndmask_b32_e64 v38, v125, v38, s[60:61]                 // 0000000077D4: D1000026 00F24D7D
	v_cndmask_b32_e64 v39, v125, v39, s[60:61]                 // 0000000077DC: D1000027 00F24F7D
	s_branch label_0E0E                                        // 0000000077E4: BF820005

00000000000077e8 <label_0E09>:
	v_mov_b32_e32 v36, v125                                    // 0000000077E8: 7E48037D
	v_mov_b32_e32 v37, v125                                    // 0000000077EC: 7E4A037D
	v_mov_b32_e32 v38, v125                                    // 0000000077F0: 7E4C037D
	v_mov_b32_e32 v39, v125                                    // 0000000077F4: 7E4E037D
	s_branch label_0E0E                                        // 0000000077F8: BF820000

00000000000077fc <label_0E0E>:
	s_addk_i32 s74, 0x1                                        // 0000000077FC: B74A0001
	s_waitcnt lgkmcnt(8)                                       // 000000007800: BF8CC87F
	v_mfma_f32_16x16x32_f16 v[56:59], v[72:75], a[48:51], 0    // 000000007804: D3D40038 12026148
	v_exp_f32_e32 v24, v24                                     // 00000000780C: 7E304118
	v_exp_f32_e32 v25, v25                                     // 000000007810: 7E324119
	v_mfma_f32_16x16x32_f16 v[56:59], v[76:79], a[52:55], v[56:59]// 000000007814: D3D40038 14E2694C
	v_exp_f32_e32 v26, v26                                     // 00000000781C: 7E34411A
	v_exp_f32_e32 v27, v27                                     // 000000007820: 7E36411B
	v_mfma_f32_16x16x32_f16 v[56:59], v[80:83], a[56:59], v[56:59]// 000000007824: D3D40038 14E27150
	ds_read_b64_tr_b16 a[112:113], v10 offset:8192             // 00000000782C: DBC62000 7000000A
	ds_read_b64_tr_b16 a[114:115], v10 offset:8448             // 000000007834: DBC62100 7200000A
	v_mfma_f32_16x16x32_f16 v[56:59], v[84:87], a[60:63], v[56:59]// 00000000783C: D3D40038 14E27954
	v_fma_f32 v36, v36, s57, -v104                             // 000000007844: D1CB0024 85A07324
	v_fma_f32 v37, v37, s57, -v105                             // 00000000784C: D1CB0025 85A47325
	v_exp_f32_e32 v28, v28                                     // 000000007854: 7E38411C
	v_exp_f32_e32 v29, v29                                     // 000000007858: 7E3A411D
	v_mfma_f32_16x16x32_f16 v[60:63], v[72:75], a[64:67], 0    // 00000000785C: D3D4003C 12028148
	ds_read_b64_tr_b16 a[116:117], v10 offset:9216             // 000000007864: DBC62400 7400000A
	ds_read_b64_tr_b16 a[118:119], v10 offset:9472             // 00000000786C: DBC62500 7600000A
	v_mfma_f32_16x16x32_f16 v[60:63], v[76:79], a[68:71], v[60:63]// 000000007874: D3D4003C 14F2894C
	v_fma_f32 v38, v38, s57, -v106                             // 00000000787C: D1CB0026 85A87326
	v_fma_f32 v39, v39, s57, -v107                             // 000000007884: D1CB0027 85AC7327
	v_exp_f32_e32 v30, v30                                     // 00000000788C: 7E3C411E
	v_exp_f32_e32 v31, v31                                     // 000000007890: 7E3E411F
	v_mfma_f32_16x16x32_f16 v[60:63], v[80:83], a[72:75], v[60:63]// 000000007894: D3D4003C 14F29150
	v_exp_f32_e32 v32, v32                                     // 00000000789C: 7E404120
	v_exp_f32_e32 v33, v33                                     // 0000000078A0: 7E424121
	v_mfma_f32_16x16x32_f16 v[60:63], v[84:87], a[76:79], v[60:63]// 0000000078A4: D3D4003C 14F29954
	v_cvt_pk_f16_f32 v116, v24, v25                            // 0000000078AC: D2670074 00023318
	v_cvt_pk_f16_f32 v117, v26, v27                            // 0000000078B4: D2670075 0002371A
	v_exp_f32_e32 v34, v34                                     // 0000000078BC: 7E444122
	v_mfma_f32_16x16x32_f16 v[64:67], v[72:75], a[80:83], 0    // 0000000078C0: D3D40040 1202A148
	v_exp_f32_e32 v35, v35                                     // 0000000078C8: 7E464123
	v_exp_f32_e32 v36, v36                                     // 0000000078CC: 7E484124
	v_mfma_f32_16x16x32_f16 v[64:67], v[76:79], a[84:87], v[64:67]// 0000000078D0: D3D40040 1502A94C
	v_cvt_pk_f16_f32 v118, v28, v29                            // 0000000078D8: D2670076 00023B1C
	v_cvt_pk_f16_f32 v119, v30, v31                            // 0000000078E0: D2670077 00023F1E
	v_exp_f32_e32 v37, v37                                     // 0000000078E8: 7E4A4125
	v_mfma_f32_16x16x32_f16 v[64:67], v[80:83], a[88:91], v[64:67]// 0000000078EC: D3D40040 1502B150
	ds_read_b64_tr_b16 a[120:121], v10 offset:10240            // 0000000078F4: DBC62800 7800000A
	ds_read_b64_tr_b16 a[122:123], v10 offset:10496            // 0000000078FC: DBC62900 7A00000A
	v_mfma_f32_16x16x32_f16 v[64:67], v[84:87], a[92:95], v[64:67]// 000000007904: D3D40040 1502B954
	v_exp_f32_e32 v38, v38                                     // 00000000790C: 7E4C4126
	v_exp_f32_e32 v39, v39                                     // 000000007910: 7E4E4127
	v_permlane16_swap_b32_e32 v116, v118                       // 000000007914: 7EE8B376
	v_mfma_f32_16x16x32_f16 v[68:71], v[72:75], a[96:99], 0    // 000000007918: D3D40044 1202C148
	ds_read_b64_tr_b16 a[124:125], v10 offset:11264            // 000000007920: DBC62C00 7C00000A
	ds_read_b64_tr_b16 a[126:127], v10 offset:11520            // 000000007928: DBC62D00 7E00000A
	v_mfma_f32_16x16x32_f16 v[68:71], v[76:79], a[100:103], v[68:71]// 000000007930: D3D40044 1512C94C
	v_cvt_pk_f16_f32 v120, v32, v33                            // 000000007938: D2670078 00024320
	v_cvt_pk_f16_f32 v121, v34, v35                            // 000000007940: D2670079 00024722
	v_cvt_pk_f16_f32 v122, v36, v37                            // 000000007948: D267007A 00024B24
	v_cvt_pk_f16_f32 v123, v38, v39                            // 000000007950: D267007B 00024F26
	v_permlane16_swap_b32_e32 v117, v119                       // 000000007958: 7EEAB377
	v_mfma_f32_16x16x32_f16 v[68:71], v[80:83], a[104:107], v[68:71]// 00000000795C: D3D40044 1512D150
	v_permlane16_swap_b32_e32 v120, v122                       // 000000007964: 7EF0B37A
	v_mfma_f32_16x16x32_f16 v[68:71], v[84:87], a[108:111], v[68:71]// 000000007968: D3D40044 1512D954
	v_permlane16_swap_b32_e32 v121, v123                       // 000000007970: 7EF2B37B
	s_waitcnt lgkmcnt(8)                                       // 000000007974: BF8CC87F
	v_mfma_f32_32x32x16_f16 v[126:141], v[88:91], v[116:119], v[126:141]// 000000007978: D3D5007E 05FAE958
	ds_read_b64_tr_b16 a[0:1], v15                             // 000000007980: DBC60000 0000000F
	ds_read_b64_tr_b16 a[2:3], v15 offset:256                  // 000000007988: DBC60100 0200000F
	ds_read_b64_tr_b16 a[4:5], v16                             // 000000007990: DBC60000 04000010
	ds_read_b64_tr_b16 a[6:7], v16 offset:256                  // 000000007998: DBC60100 06000010
	buffer_atomic_add_f32 v110, v6, s[32:35], 0 offen          // 0000000079A0: E1341000 80086E06
	v_mfma_f32_32x32x16_f16 v[142:157], v[92:95], v[116:119], v[142:157]// 0000000079A8: D3D5008E 063AE95C
	v_subrev_f32_dpp v56, v124, v56 quad_perm:[0,0,0,0] row_mask:0xf bank_mask:0xf// 0000000079B0: 067070FA FF00007C
	v_subrev_f32_dpp v57, v124, v57 quad_perm:[1,1,1,1] row_mask:0xf bank_mask:0xf// 0000000079B8: 067272FA FF00557C
	v_subrev_f32_dpp v58, v124, v58 quad_perm:[2,2,2,2] row_mask:0xf bank_mask:0xf// 0000000079C0: 067474FA FF00AA7C
	v_subrev_f32_dpp v59, v124, v59 quad_perm:[3,3,3,3] row_mask:0xf bank_mask:0xf// 0000000079C8: 067676FA FF00FF7C
	v_subrev_f32_dpp v60, v124, v60 quad_perm:[0,0,0,0] row_mask:0xf bank_mask:0xf// 0000000079D0: 067878FA FF00007C
	v_subrev_f32_dpp v61, v124, v61 quad_perm:[1,1,1,1] row_mask:0xf bank_mask:0xf// 0000000079D8: 067A7AFA FF00557C
	v_subrev_f32_dpp v62, v124, v62 quad_perm:[2,2,2,2] row_mask:0xf bank_mask:0xf// 0000000079E0: 067C7CFA FF00AA7C
	v_subrev_f32_dpp v63, v124, v63 quad_perm:[3,3,3,3] row_mask:0xf bank_mask:0xf// 0000000079E8: 067E7EFA FF00FF7C
	v_mul_f32_e32 v56, v24, v56                                // 0000000079F0: 0A707118
	v_mul_f32_e32 v57, v25, v57                                // 0000000079F4: 0A727319
	v_mfma_f32_32x32x16_f16 v[158:173], v[96:99], v[116:119], v[158:173]// 0000000079F8: D3D5009E 067AE960
	ds_read_b64_tr_b16 a[8:9], v15 offset:8192                 // 000000007A00: DBC62000 0800000F
	ds_read_b64_tr_b16 a[10:11], v15 offset:8448               // 000000007A08: DBC62100 0A00000F
	ds_read_b64_tr_b16 a[12:13], v16 offset:8192               // 000000007A10: DBC62000 0C000010
	ds_read_b64_tr_b16 a[14:15], v16 offset:8448               // 000000007A18: DBC62100 0E000010
	v_mfma_f32_32x32x16_f16 v[174:189], v[100:103], v[116:119], v[174:189]// 000000007A20: D3D500AE 06BAE964
	v_mul_f32_e32 v58, v26, v58                                // 000000007A28: 0A74751A
	v_mul_f32_e32 v59, v27, v59                                // 000000007A2C: 0A76771B
	v_mul_f32_e32 v60, v28, v60                                // 000000007A30: 0A78791C
	v_mul_f32_e32 v61, v29, v61                                // 000000007A34: 0A7A7B1D
	v_mul_f32_e32 v62, v30, v62                                // 000000007A38: 0A7C7D1E
	v_mul_f32_e32 v63, v31, v63                                // 000000007A3C: 0A7E7F1F
	v_cvt_pk_f16_f32 v56, v56, v57                             // 000000007A40: D2670038 00027338
	v_cvt_pk_f16_f32 v57, v58, v59                             // 000000007A48: D2670039 0002773A
	v_cvt_pk_f16_f32 v58, v60, v61                             // 000000007A50: D267003A 00027B3C
	v_cvt_pk_f16_f32 v59, v62, v63                             // 000000007A58: D267003B 00027F3E
	v_subrev_f32_dpp v64, v124, v64 quad_perm:[0,0,0,0] row_mask:0xf bank_mask:0xf// 000000007A60: 068080FA FF00007C
	v_subrev_f32_dpp v65, v124, v65 quad_perm:[1,1,1,1] row_mask:0xf bank_mask:0xf// 000000007A68: 068282FA FF00557C
	v_subrev_f32_dpp v66, v124, v66 quad_perm:[2,2,2,2] row_mask:0xf bank_mask:0xf// 000000007A70: 068484FA FF00AA7C
	v_subrev_f32_dpp v67, v124, v67 quad_perm:[3,3,3,3] row_mask:0xf bank_mask:0xf// 000000007A78: 068686FA FF00FF7C
	v_mfma_f32_32x32x16_f16 v[190:205], v[88:91], v[120:123], v[190:205]// 000000007A80: D3D500BE 06FAF158
	ds_read_b64_tr_b16 a[16:17], v15 offset:16384              // 000000007A88: DBC64000 1000000F
	ds_read_b64_tr_b16 a[18:19], v15 offset:16640              // 000000007A90: DBC64100 1200000F
	ds_write_b64 v12, v[56:57] offset:32768                    // 000000007A98: D89A8000 0000380C
	ds_write_b64 v12, v[58:59] offset:35072                    // 000000007AA0: D89A8900 00003A0C
	buffer_atomic_add_f32 v111, v7, s[32:35], 0 offen          // 000000007AA8: E1341000 80086F07
	v_mfma_f32_32x32x16_f16 v[206:221], v[92:95], v[120:123], v[206:221]// 000000007AB0: D3D500CE 073AF15C
	v_subrev_f32_dpp v68, v124, v68 quad_perm:[0,0,0,0] row_mask:0xf bank_mask:0xf// 000000007AB8: 068888FA FF00007C
	v_subrev_f32_dpp v69, v124, v69 quad_perm:[1,1,1,1] row_mask:0xf bank_mask:0xf// 000000007AC0: 068A8AFA FF00557C
	v_subrev_f32_dpp v70, v124, v70 quad_perm:[2,2,2,2] row_mask:0xf bank_mask:0xf// 000000007AC8: 068C8CFA FF00AA7C
	v_subrev_f32_dpp v71, v124, v71 quad_perm:[3,3,3,3] row_mask:0xf bank_mask:0xf// 000000007AD0: 068E8EFA FF00FF7C
	v_mul_f32_e32 v64, v32, v64                                // 000000007AD8: 0A808120
	v_mul_f32_e32 v65, v33, v65                                // 000000007ADC: 0A828321
	v_mul_f32_e32 v66, v34, v66                                // 000000007AE0: 0A848522
	v_mul_f32_e32 v67, v35, v67                                // 000000007AE4: 0A868723
	v_mul_f32_e32 v68, v36, v68                                // 000000007AE8: 0A888924
	v_mul_f32_e32 v69, v37, v69                                // 000000007AEC: 0A8A8B25
	v_mul_f32_e32 v70, v38, v70                                // 000000007AF0: 0A8C8D26
	v_mul_f32_e32 v71, v39, v71                                // 000000007AF4: 0A8E8F27
	v_cvt_pk_f16_f32 v60, v64, v65                             // 000000007AF8: D267003C 00028340
	v_cvt_pk_f16_f32 v61, v66, v67                             // 000000007B00: D267003D 00028742
	v_cvt_pk_f16_f32 v62, v68, v69                             // 000000007B08: D267003E 00028B44
	v_cvt_pk_f16_f32 v63, v70, v71                             // 000000007B10: D267003F 00028F46
	v_mfma_f32_32x32x16_f16 v[222:237], v[96:99], v[120:123], v[222:237]// 000000007B18: D3D500DE 077AF160
	ds_read_b32 v104, v13 offset:43520                         // 000000007B20: D86CAA00 6800000D
	ds_read_b32 v124, v13 offset:43776                         // 000000007B28: D86CAB00 7C00000D
	ds_write_b64 v12, v[60:61] offset:37376                    // 000000007B30: D89A9200 00003C0C
	ds_write_b64 v12, v[62:63] offset:39680                    // 000000007B38: D89A9B00 00003E0C
	v_mfma_f32_32x32x16_f16 v[238:253], v[100:103], v[120:123], v[238:253]// 000000007B40: D3D500EE 07BAF164
	v_permlane16_swap_b32_e32 v56, v58                         // 000000007B48: 7E70B33A
	v_permlane16_swap_b32_e32 v57, v59                         // 000000007B4C: 7E72B33B
	s_nop 1                                                    // 000000007B50: BF800001
	s_waitcnt lgkmcnt(12)                                      // 000000007B54: BF8CCC7F
	v_mfma_f32_32x32x16_f16 a[128:143], a[112:115], v[56:59], a[128:143]// 000000007B58: D3D58080 0E027170
	ds_read_b64_tr_b16 a[20:21], v16 offset:16384              // 000000007B60: DBC64000 14000010
	ds_read_b64_tr_b16 a[22:23], v16 offset:16640              // 000000007B68: DBC64100 16000010
	ds_read_b64_tr_b16 a[24:25], v15 offset:24576              // 000000007B70: DBC66000 1800000F
	ds_read_b64_tr_b16 a[26:27], v15 offset:24832              // 000000007B78: DBC66100 1A00000F
	ds_read_b64_tr_b16 a[28:29], v16 offset:24576              // 000000007B80: DBC66000 1C000010
	ds_read_b64_tr_b16 a[30:31], v16 offset:24832              // 000000007B88: DBC66100 1E000010
	ds_read_b64_tr_b16 a[32:33], v15 offset:32768              // 000000007B90: DBC68000 2000000F
	ds_read_b64_tr_b16 a[34:35], v15 offset:33024              // 000000007B98: DBC68100 2200000F
	v_mfma_f32_32x32x16_f16 a[144:159], a[116:119], v[56:59], a[144:159]// 000000007BA0: D3D58090 0E427174
	v_permlane16_swap_b32_e32 v60, v62                         // 000000007BA8: 7E78B33E
	buffer_atomic_add_f32 v112, v4, s[32:35], 0 offen offset:64// 000000007BAC: E1341040 80087004
	s_waitcnt lgkmcnt(8)                                       // 000000007BB4: BF8CC87F
	s_barrier                                                  // 000000007BB8: BF8A0000
	v_mfma_f32_32x32x16_f16 a[160:175], a[120:123], v[56:59], a[160:175]// 000000007BBC: D3D580A0 0E827178
	ds_read_b64_tr_b16 v[24:25], v11 offset:32768              // 000000007BC4: D9C68000 1800000B
	ds_read_b64_tr_b16 v[26:27], v11 offset:32800              // 000000007BCC: D9C68020 1A00000B
	ds_read_b64_tr_b16 v[28:29], v11 offset:33920              // 000000007BD4: D9C68480 1C00000B
	ds_read_b64_tr_b16 v[30:31], v11 offset:33952              // 000000007BDC: D9C684A0 1E00000B
	ds_read_b64_tr_b16 v[32:33], v11 offset:35072              // 000000007BE4: D9C68900 2000000B
	ds_read_b64_tr_b16 v[34:35], v11 offset:35104              // 000000007BEC: D9C68920 2200000B
	ds_read_b64_tr_b16 v[36:37], v11 offset:36224              // 000000007BF4: D9C68D80 2400000B
	ds_read_b64_tr_b16 v[38:39], v11 offset:36256              // 000000007BFC: D9C68DA0 2600000B
	v_mfma_f32_32x32x16_f16 a[176:191], a[124:127], v[56:59], a[176:191]// 000000007C04: D3D580B0 0EC2717C
	v_permlane16_swap_b32_e32 v61, v63                         // 000000007C0C: 7E7AB33F
	v_mul_f32_e32 v104, s48, v104                              // 000000007C10: 0AD0D030
	buffer_atomic_add_f32 v113, v5, s[32:35], 0 offen offset:64// 000000007C14: E1341040 80087105
	v_mfma_f32_32x32x16_f16 a[192:207], a[112:115], v[60:63], a[192:207]// 000000007C1C: D3D580C0 0F027970
	ds_read_b64_tr_b16 v[40:41], v11 offset:37376              // 000000007C24: D9C69200 2800000B
	ds_read_b64_tr_b16 v[42:43], v11 offset:37408              // 000000007C2C: D9C69220 2A00000B
	ds_read_b64_tr_b16 v[44:45], v11 offset:38528              // 000000007C34: D9C69680 2C00000B
	ds_read_b64_tr_b16 v[46:47], v11 offset:38560              // 000000007C3C: D9C696A0 2E00000B
	ds_read_b64_tr_b16 a[36:37], v16 offset:32768              // 000000007C44: DBC68000 24000010
	ds_read_b64_tr_b16 a[38:39], v16 offset:33024              // 000000007C4C: DBC68100 26000010
	ds_read_b64_tr_b16 a[40:41], v15 offset:40960              // 000000007C54: DBC6A000 2800000F
	ds_read_b64_tr_b16 a[42:43], v15 offset:41216              // 000000007C5C: DBC6A100 2A00000F
	v_mfma_f32_32x32x16_f16 a[208:223], a[116:119], v[60:63], a[208:223]// 000000007C64: D3D580D0 0F427974
	v_mov_b32_dpp v107, v104 quad_perm:[3,3,3,3] row_mask:0xf bank_mask:0xf// 000000007C6C: 7ED602FA FF00FF68
	v_mov_b32_dpp v106, v104 quad_perm:[2,2,2,2] row_mask:0xf bank_mask:0xf// 000000007C74: 7ED402FA FF00AA68
	buffer_atomic_add_f32 v114, v6, s[32:35], 0 offen offset:64// 000000007C7C: E1341040 80087206
	v_mfma_f32_32x32x16_f16 a[224:239], a[120:123], v[60:63], a[224:239]// 000000007C84: D3D580E0 0F827978
	ds_read_b64_tr_b16 v[48:49], v11 offset:39680              // 000000007C8C: D9C69B00 3000000B
	ds_read_b64_tr_b16 v[50:51], v11 offset:39712              // 000000007C94: D9C69B20 3200000B
	ds_read_b64_tr_b16 v[52:53], v11 offset:40832              // 000000007C9C: D9C69F80 3400000B
	ds_read_b64_tr_b16 v[54:55], v11 offset:40864              // 000000007CA4: D9C69FA0 3600000B
	ds_read_b64_tr_b16 a[44:45], v16 offset:40960              // 000000007CAC: DBC6A000 2C000010
	ds_read_b64_tr_b16 a[46:47], v16 offset:41216              // 000000007CB4: DBC6A100 2E000010
	v_mfma_f32_32x32x16_f16 a[240:255], a[124:127], v[60:63], a[240:255]// 000000007CBC: D3D580F0 0FC2797C
	v_mov_b32_dpp v105, v104 quad_perm:[1,1,1,1] row_mask:0xf bank_mask:0xf// 000000007CC4: 7ED202FA FF005568
	v_mov_b32_dpp v104, v104 quad_perm:[0,0,0,0] row_mask:0xf bank_mask:0xf// 000000007CCC: 7ED002FA FF000068
	buffer_atomic_add_f32 v115, v7, s[32:35], 0 offen offset:64// 000000007CD4: E1341040 80087307
	s_waitcnt vmcnt(8) lgkmcnt(6)                              // 000000007CDC: BF8C0678
	s_barrier                                                  // 000000007CE0: BF8A0000
	v_mfma_f32_16x16x32_f16 v[108:111], v[24:27], a[0:3], 0    // 000000007CE4: D3D4006C 12020118
	ds_read_b64_tr_b16 v[56:57], v15 offset:49152              // 000000007CEC: D9C6C000 3800000F
	ds_read_b64_tr_b16 v[58:59], v15 offset:49408              // 000000007CF4: D9C6C100 3A00000F
	ds_read_b64_tr_b16 v[60:61], v16 offset:49152              // 000000007CFC: D9C6C000 3C000010
	ds_read_b64_tr_b16 v[62:63], v16 offset:49408              // 000000007D04: D9C6C100 3E000010
	v_mfma_f32_16x16x32_f16 v[108:111], v[28:31], a[8:11], v[108:111]// 000000007D0C: D3D4006C 15B2111C
	s_mov_b32 m0, s83                                          // 000000007D14: BEFC0053
	buffer_load_dwordx4 v1, s[8:11], 0 idxen lds               // 000000007D18: E05D2000 80020001
	v_mfma_f32_16x16x32_f16 v[108:111], v[32:35], a[16:19], v[108:111]// 000000007D20: D3D4006C 15B22120
	ds_read_b64_tr_b16 v[64:65], v15 offset:57344              // 000000007D28: D9C6E000 4000000F
	ds_read_b64_tr_b16 v[66:67], v15 offset:57600              // 000000007D30: D9C6E100 4200000F
	ds_read_b64_tr_b16 v[68:69], v16 offset:57344              // 000000007D38: D9C6E000 44000010
	ds_read_b64_tr_b16 v[70:71], v16 offset:57600              // 000000007D40: D9C6E100 46000010
	v_mfma_f32_16x16x32_f16 v[108:111], v[36:39], a[24:27], v[108:111]// 000000007D48: D3D4006C 15B23124
	s_mov_b32 m0, s87                                          // 000000007D50: BEFC0057
	buffer_load_dwordx4 v254, s[20:23], 0 idxen lds            // 000000007D54: E05D2000 800500FE
	v_mfma_f32_16x16x32_f16 v[108:111], v[40:43], a[32:35], v[108:111]// 000000007D5C: D3D4006C 15B24128
	ds_read_b128 a[112:115], v9 offset:12288                   // 000000007D64: DBFE3000 70000009
	ds_read_b128 a[116:119], v9 offset:13312                   // 000000007D6C: DBFE3400 74000009
	v_mfma_f32_16x16x32_f16 v[108:111], v[44:47], a[40:43], v[108:111]// 000000007D74: D3D4006C 15B2512C
	s_mov_b32 m0, s79                                          // 000000007D7C: BEFC004F
	buffer_load_dword v8, s[24:27], 0 idxen lds                // 000000007D80: E0512000 80060008
	s_waitcnt lgkmcnt(4)                                       // 000000007D88: BF8CC47F
	s_barrier                                                  // 000000007D8C: BF8A0000
	v_mfma_f32_16x16x32_f16 v[108:111], v[48:51], v[56:59], v[108:111]// 000000007D90: D3D4006C 05B27130
	ds_read_b128 a[120:123], v9 offset:14336                   // 000000007D98: DBFE3800 78000009
	ds_read_b128 a[124:127], v9 offset:15360                   // 000000007DA0: DBFE3C00 7C000009
	v_mfma_f32_16x16x32_f16 v[108:111], v[52:55], v[64:67], v[108:111]// 000000007DA8: D3D4006C 05B28134
	s_add_u32 s60, 64, s59                                     // 000000007DB0: 803C3BC0
	s_cmp_lt_u32 s60, s58                                      // 000000007DB4: BF0A3A3C
	s_cselect_b32 s68, s68, 0                                  // 000000007DB8: 85448044
	s_cselect_b32 s98, s98, 0                                  // 000000007DBC: 85628062
	s_cselect_b32 s69, s69, 0                                  // 000000007DC0: 85458045
	v_mfma_f32_16x16x32_f16 v[112:115], v[24:27], a[4:7], 0    // 000000007DC4: D3D40070 12020918
	ds_read_b128 a[0:3], v14                                   // 000000007DCC: DBFE0000 0000000E
	ds_read_b128 a[4:7], v14 offset:1024                       // 000000007DD4: DBFE0400 0400000E
	v_mfma_f32_16x16x32_f16 v[112:115], v[28:31], a[12:15], v[112:115]// 000000007DDC: D3D40070 15C2191C
	v_add_u32_e32 v1, s68, v1                                  // 000000007DE4: 68020244
	v_add_u32_e32 v254, s98, v254                              // 000000007DE8: 69FDFC62
	v_add_u32_e32 v8, s69, v8                                  // 000000007DEC: 68101045
	v_mfma_f32_16x16x32_f16 v[112:115], v[32:35], a[20:23], v[112:115]// 000000007DF0: D3D40070 15C22920
	ds_read_b128 a[8:11], v14 offset:2048                      // 000000007DF8: DBFE0800 0800000E
	ds_read_b128 a[12:15], v14 offset:3072                     // 000000007E00: DBFE0C00 0C00000E
	v_mfma_f32_16x16x32_f16 v[112:115], v[36:39], a[28:31], v[112:115]// 000000007E08: D3D40070 15C23924
	v_mul_f32_e32 v108, s47, v108                              // 000000007E10: 0AD8D82F
	v_mul_f32_e32 v109, s47, v109                              // 000000007E14: 0ADADA2F
	v_mfma_f32_16x16x32_f16 v[112:115], v[40:43], a[36:39], v[112:115]// 000000007E18: D3D40070 15C24928
	ds_read_b128 a[16:19], v14 offset:16384                    // 000000007E20: DBFE4000 1000000E
	ds_read_b128 a[20:23], v14 offset:17408                    // 000000007E28: DBFE4400 1400000E
	v_mfma_f32_16x16x32_f16 v[112:115], v[44:47], a[44:47], v[112:115]// 000000007E30: D3D40070 15C2592C
	v_mul_f32_e32 v110, s47, v110                              // 000000007E38: 0ADCDC2F
	s_cmp_ge_u32 s59, s73                                      // 000000007E3C: BF09493B
	s_cselect_b32 s66, s67, s66                                // 000000007E40: 85424243
	s_waitcnt lgkmcnt(10)                                      // 000000007E44: BF8CCA7F
	v_mfma_f32_16x16x32_f16 v[112:115], v[48:51], v[60:63], v[112:115]// 000000007E48: D3D40070 05C27930
	ds_read_b128 a[24:27], v14 offset:18432                    // 000000007E50: DBFE4800 1800000E
	ds_read_b128 a[28:31], v14 offset:19456                    // 000000007E58: DBFE4C00 1C00000E
	v_mfma_f32_16x16x32_f16 v[112:115], v[52:55], v[68:71], v[112:115]// 000000007E60: D3D40070 05C28934
	s_addk_i32 s59, 0x10                                       // 000000007E68: B73B0010
	v_mul_f32_e32 v111, s47, v111                              // 000000007E6C: 0ADEDE2F
	s_cmp_lt_i32 s59, s58                                      // 000000007E70: BF043A3B
	s_cbranch_scc0 label_12CC                                  // 000000007E74: BF84031A
	s_waitcnt lgkmcnt(2)                                       // 000000007E78: BF8CC27F
	v_mfma_f32_16x16x32_f16 v[24:27], a[112:115], a[0:3], 0    // 000000007E7C: D3D40018 1A020170
	ds_read_b128 a[32:35], v14 offset:32768                    // 000000007E84: DBFE8000 2000000E
	ds_read_b128 a[36:39], v14 offset:33792                    // 000000007E8C: DBFE8400 2400000E
	v_mfma_f32_16x16x32_f16 v[24:27], a[116:119], a[4:7], v[24:27]// 000000007E94: D3D40018 1C620974
	v_add_u32_e32 v4, s66, v4                                  // 000000007E9C: 68080842
	v_add_u32_e32 v5, s66, v5                                  // 000000007EA0: 680A0A42
	v_add_u32_e32 v6, s66, v6                                  // 000000007EA4: 680C0C42
	v_add_u32_e32 v7, s66, v7                                  // 000000007EA8: 680E0E42
	v_mfma_f32_16x16x32_f16 v[24:27], a[120:123], a[8:11], v[24:27]// 000000007EAC: D3D40018 1C621178
	ds_read_b128 a[40:43], v14 offset:34816                    // 000000007EB4: DBFE8800 2800000E
	ds_read_b128 a[44:47], v14 offset:35840                    // 000000007EBC: DBFE8C00 2C00000E
	v_mfma_f32_16x16x32_f16 v[24:27], a[124:127], a[12:15], v[24:27]// 000000007EC4: D3D40018 1C62197C
	v_mul_f32_e32 v112, s47, v112                              // 000000007ECC: 0AE0E02F
	v_mul_f32_e32 v113, s47, v113                              // 000000007ED0: 0AE2E22F
	v_mfma_f32_16x16x32_f16 v[28:31], a[112:115], a[16:19], 0  // 000000007ED4: D3D4001C 1A022170
	ds_read_b128 v[56:59], v14 offset:49152                    // 000000007EDC: D9FEC000 3800000E
	ds_read_b128 v[60:63], v14 offset:50176                    // 000000007EE4: D9FEC400 3C00000E
	v_mfma_f32_16x16x32_f16 v[28:31], a[116:119], a[20:23], v[28:31]// 000000007EEC: D3D4001C 1C722974
	v_mul_f32_e32 v114, s47, v114                              // 000000007EF4: 0AE4E42F
	v_mul_f32_e32 v115, s47, v115                              // 000000007EF8: 0AE6E62F
	s_waitcnt lgkmcnt(6)                                       // 000000007EFC: BF8CC67F
	v_mfma_f32_16x16x32_f16 v[28:31], a[120:123], a[24:27], v[28:31]// 000000007F00: D3D4001C 1C723178
	ds_read_b128 v[64:67], v14 offset:51200                    // 000000007F08: D9FEC800 4000000E
	ds_read_b128 v[68:71], v14 offset:52224                    // 000000007F10: D9FECC00 4400000E
	v_mfma_f32_16x16x32_f16 v[28:31], a[124:127], a[28:31], v[28:31]// 000000007F18: D3D4001C 1C72397C
	v_fma_f32 v24, v24, s57, -v104                             // 000000007F20: D1CB0018 85A07318
	v_fma_f32 v25, v25, s57, -v105                             // 000000007F28: D1CB0019 85A47319
	s_waitcnt lgkmcnt(6)                                       // 000000007F30: BF8CC67F
	v_mfma_f32_16x16x32_f16 v[32:35], a[112:115], a[32:35], 0  // 000000007F34: D3D40020 1A024170
	ds_read_b128 v[72:75], v9 offset:28672                     // 000000007F3C: D9FE7000 48000009
	ds_read_b128 v[76:79], v9 offset:29696                     // 000000007F44: D9FE7400 4C000009
	v_mfma_f32_16x16x32_f16 v[32:35], a[116:119], a[36:39], v[32:35]// 000000007F4C: D3D40020 1C824974
	v_fma_f32 v26, v26, s57, -v106                             // 000000007F54: D1CB001A 85A8731A
	v_fma_f32 v27, v27, s57, -v107                             // 000000007F5C: D1CB001B 85AC731B
	buffer_atomic_add_f32 v108, v4, s[32:35], 0 offen          // 000000007F64: E1341000 80086C04
	s_waitcnt lgkmcnt(6)                                       // 000000007F6C: BF8CC67F
	v_mfma_f32_16x16x32_f16 v[32:35], a[120:123], a[40:43], v[32:35]// 000000007F70: D3D40020 1C825178
	ds_read_b128 v[80:83], v9 offset:30720                     // 000000007F78: D9FE7800 50000009
	ds_read_b128 v[84:87], v9 offset:31744                     // 000000007F80: D9FE7C00 54000009
	v_mfma_f32_16x16x32_f16 v[32:35], a[124:127], a[44:47], v[32:35]// 000000007F88: D3D40020 1C82597C
	v_fma_f32 v28, v28, s57, -v104                             // 000000007F90: D1CB001C 85A0731C
	v_fma_f32 v29, v29, s57, -v105                             // 000000007F98: D1CB001D 85A4731D
	s_waitcnt lgkmcnt(6)                                       // 000000007FA0: BF8CC67F
	v_mfma_f32_16x16x32_f16 v[36:39], a[112:115], v[56:59], 0  // 000000007FA4: D3D40024 0A027170
	ds_read_b64_tr_b16 v[88:89], v10 offset:28672              // 000000007FAC: D9C67000 5800000A
	ds_read_b64_tr_b16 v[90:91], v10 offset:28928              // 000000007FB4: D9C67100 5A00000A
	ds_read_b64_tr_b16 v[92:93], v10 offset:29696              // 000000007FBC: D9C67400 5C00000A
	ds_read_b64_tr_b16 v[94:95], v10 offset:29952              // 000000007FC4: D9C67500 5E00000A
	v_mfma_f32_16x16x32_f16 v[36:39], a[116:119], v[60:63], v[36:39]// 000000007FCC: D3D40024 0C927974
	v_fma_f32 v30, v30, s57, -v106                             // 000000007FD4: D1CB001E 85A8731E
	v_fma_f32 v31, v31, s57, -v107                             // 000000007FDC: D1CB001F 85AC731F
	s_waitcnt lgkmcnt(8)                                       // 000000007FE4: BF8CC87F
	v_mfma_f32_16x16x32_f16 v[36:39], a[120:123], v[64:67], v[36:39]// 000000007FE8: D3D40024 0C928178
	ds_read_b64_tr_b16 v[96:97], v10 offset:30720              // 000000007FF0: D9C67800 6000000A
	ds_read_b64_tr_b16 v[98:99], v10 offset:30976              // 000000007FF8: D9C67900 6200000A
	ds_read_b64_tr_b16 v[100:101], v10 offset:31744            // 000000008000: D9C67C00 6400000A
	ds_read_b64_tr_b16 v[102:103], v10 offset:32000            // 000000008008: D9C67D00 6600000A
	v_mfma_f32_16x16x32_f16 v[36:39], a[124:127], v[68:71], v[36:39]// 000000008010: D3D40024 0C92897C
	v_fma_f32 v32, v32, s57, -v104                             // 000000008018: D1CB0020 85A07320
	v_fma_f32 v33, v33, s57, -v105                             // 000000008020: D1CB0021 85A47321
	v_fma_f32 v34, v34, s57, -v106                             // 000000008028: D1CB0022 85A87322
	v_fma_f32 v35, v35, s57, -v107                             // 000000008030: D1CB0023 85AC7323
	buffer_atomic_add_f32 v109, v5, s[32:35], 0 offen          // 000000008038: E1341000 80086D05
	s_cmp_lt_i32 s74, 16                                       // 000000008040: BF04904A
	s_cbranch_scc0 label_10BB                                  // 000000008044: BF84009A
	s_mov_b32 s60, 0xffe0fffe                                  // 000000008048: BEBC00FF FFE0FFFE
	s_mov_b32 s61, 0xe000fe00                                  // 000000008050: BEBD00FF E000FE00
	s_nop 0                                                    // 000000008058: BF800000
	s_add_u32 s62, 0, s46                                      // 00000000805C: 803E2E80
	s_cmp_lt_i32 s74, s62                                      // 000000008060: BF043E4A
	s_cbranch_scc1 label_1056                                  // 000000008064: BF85002D
	s_cmp_eq_i32 s74, s62                                      // 000000008068: BF003E4A
	s_cbranch_scc1 label_103B                                  // 00000000806C: BF850010
	s_add_u32 s62, 4, s46                                      // 000000008070: 803E2E84
	s_cmp_lt_i32 s74, s62                                      // 000000008074: BF043E4A
	s_cbranch_scc1 label_1076                                  // 000000008078: BF850048
	s_cmp_eq_i32 s74, s62                                      // 00000000807C: BF003E4A
	s_cbranch_scc1 label_105B                                  // 000000008080: BF85002B
	s_add_u32 s62, 8, s46                                      // 000000008084: 803E2E88
	s_cmp_lt_i32 s74, s62                                      // 000000008088: BF043E4A
	s_cbranch_scc1 label_1096                                  // 00000000808C: BF850063
	s_cmp_eq_i32 s74, s62                                      // 000000008090: BF003E4A
	s_cbranch_scc1 label_107B                                  // 000000008094: BF850046
	s_add_u32 s62, 12, s46                                     // 000000008098: 803E2E8C
	s_cmp_lt_i32 s74, s62                                      // 00000000809C: BF043E4A
	s_cbranch_scc1 label_10B6                                  // 0000000080A0: BF85007E
	s_cmp_eq_i32 s74, s62                                      // 0000000080A4: BF003E4A
	s_cbranch_scc1 label_109B                                  // 0000000080A8: BF850061
	s_branch label_10BB                                        // 0000000080AC: BF820080

00000000000080b0 <label_103B>:
	v_cndmask_b32_e64 v24, v24, v125, s[60:61]                 // 0000000080B0: D1000018 00F2FB18
	s_lshl_b32 s60, s60, 1                                     // 0000000080B8: 8E3C813C
	s_lshl_b32 s61, s61, 1                                     // 0000000080BC: 8E3D813D
	s_and_b32 s60, 0xfffeffff, s60                             // 0000000080C0: 863C3CFF FFFEFFFF
	s_and_b32 s61, 0xfffeffff, s61                             // 0000000080C8: 863D3DFF FFFEFFFF
	v_cndmask_b32_e64 v25, v25, v125, s[60:61]                 // 0000000080D0: D1000019 00F2FB19
	s_lshl_b32 s60, s60, 1                                     // 0000000080D8: 8E3C813C
	s_lshl_b32 s61, s61, 1                                     // 0000000080DC: 8E3D813D
	s_and_b32 s60, 0xfffeffff, s60                             // 0000000080E0: 863C3CFF FFFEFFFF
	s_and_b32 s61, 0xfffeffff, s61                             // 0000000080E8: 863D3DFF FFFEFFFF
	v_cndmask_b32_e64 v26, v26, v125, s[60:61]                 // 0000000080F0: D100001A 00F2FB1A
	s_lshl_b32 s60, s60, 1                                     // 0000000080F8: 8E3C813C
	s_lshl_b32 s61, s61, 1                                     // 0000000080FC: 8E3D813D
	s_and_b32 s60, 0xfffeffff, s60                             // 000000008100: 863C3CFF FFFEFFFF
	s_and_b32 s61, 0xfffeffff, s61                             // 000000008108: 863D3DFF FFFEFFFF
	v_cndmask_b32_e64 v27, v27, v125, s[60:61]                 // 000000008110: D100001B 00F2FB1B
	s_branch label_1076                                        // 000000008118: BF820020

000000000000811c <label_1056>:
	v_mov_b32_e32 v24, v125                                    // 00000000811C: 7E30037D
	v_mov_b32_e32 v25, v125                                    // 000000008120: 7E32037D
	v_mov_b32_e32 v26, v125                                    // 000000008124: 7E34037D
	v_mov_b32_e32 v27, v125                                    // 000000008128: 7E36037D
	s_branch label_1076                                        // 00000000812C: BF82001B

0000000000008130 <label_105B>:
	v_cndmask_b32_e64 v28, v28, v125, s[60:61]                 // 000000008130: D100001C 00F2FB1C
	s_lshl_b32 s60, s60, 1                                     // 000000008138: 8E3C813C
	s_lshl_b32 s61, s61, 1                                     // 00000000813C: 8E3D813D
	s_and_b32 s60, 0xfffeffff, s60                             // 000000008140: 863C3CFF FFFEFFFF
	s_and_b32 s61, 0xfffeffff, s61                             // 000000008148: 863D3DFF FFFEFFFF
	v_cndmask_b32_e64 v29, v29, v125, s[60:61]                 // 000000008150: D100001D 00F2FB1D
	s_lshl_b32 s60, s60, 1                                     // 000000008158: 8E3C813C
	s_lshl_b32 s61, s61, 1                                     // 00000000815C: 8E3D813D
	s_and_b32 s60, 0xfffeffff, s60                             // 000000008160: 863C3CFF FFFEFFFF
	s_and_b32 s61, 0xfffeffff, s61                             // 000000008168: 863D3DFF FFFEFFFF
	v_cndmask_b32_e64 v30, v30, v125, s[60:61]                 // 000000008170: D100001E 00F2FB1E
	s_lshl_b32 s60, s60, 1                                     // 000000008178: 8E3C813C
	s_lshl_b32 s61, s61, 1                                     // 00000000817C: 8E3D813D
	s_and_b32 s60, 0xfffeffff, s60                             // 000000008180: 863C3CFF FFFEFFFF
	s_and_b32 s61, 0xfffeffff, s61                             // 000000008188: 863D3DFF FFFEFFFF
	v_cndmask_b32_e64 v31, v31, v125, s[60:61]                 // 000000008190: D100001F 00F2FB1F
	s_branch label_1096                                        // 000000008198: BF820020

000000000000819c <label_1076>:
	v_mov_b32_e32 v28, v125                                    // 00000000819C: 7E38037D
	v_mov_b32_e32 v29, v125                                    // 0000000081A0: 7E3A037D
	v_mov_b32_e32 v30, v125                                    // 0000000081A4: 7E3C037D
	v_mov_b32_e32 v31, v125                                    // 0000000081A8: 7E3E037D
	s_branch label_1096                                        // 0000000081AC: BF82001B

00000000000081b0 <label_107B>:
	v_cndmask_b32_e64 v32, v32, v125, s[60:61]                 // 0000000081B0: D1000020 00F2FB20
	s_lshl_b32 s60, s60, 1                                     // 0000000081B8: 8E3C813C
	s_lshl_b32 s61, s61, 1                                     // 0000000081BC: 8E3D813D
	s_and_b32 s60, 0xfffeffff, s60                             // 0000000081C0: 863C3CFF FFFEFFFF
	s_and_b32 s61, 0xfffeffff, s61                             // 0000000081C8: 863D3DFF FFFEFFFF
	v_cndmask_b32_e64 v33, v33, v125, s[60:61]                 // 0000000081D0: D1000021 00F2FB21
	s_lshl_b32 s60, s60, 1                                     // 0000000081D8: 8E3C813C
	s_lshl_b32 s61, s61, 1                                     // 0000000081DC: 8E3D813D
	s_and_b32 s60, 0xfffeffff, s60                             // 0000000081E0: 863C3CFF FFFEFFFF
	s_and_b32 s61, 0xfffeffff, s61                             // 0000000081E8: 863D3DFF FFFEFFFF
	v_cndmask_b32_e64 v34, v34, v125, s[60:61]                 // 0000000081F0: D1000022 00F2FB22
	s_lshl_b32 s60, s60, 1                                     // 0000000081F8: 8E3C813C
	s_lshl_b32 s61, s61, 1                                     // 0000000081FC: 8E3D813D
	s_and_b32 s60, 0xfffeffff, s60                             // 000000008200: 863C3CFF FFFEFFFF
	s_and_b32 s61, 0xfffeffff, s61                             // 000000008208: 863D3DFF FFFEFFFF
	v_cndmask_b32_e64 v35, v35, v125, s[60:61]                 // 000000008210: D1000023 00F2FB23
	s_branch label_10B6                                        // 000000008218: BF820020

000000000000821c <label_1096>:
	v_mov_b32_e32 v32, v125                                    // 00000000821C: 7E40037D
	v_mov_b32_e32 v33, v125                                    // 000000008220: 7E42037D
	v_mov_b32_e32 v34, v125                                    // 000000008224: 7E44037D
	v_mov_b32_e32 v35, v125                                    // 000000008228: 7E46037D
	s_branch label_10B6                                        // 00000000822C: BF82001B

0000000000008230 <label_109B>:
	v_cndmask_b32_e64 v36, v36, v125, s[60:61]                 // 000000008230: D1000024 00F2FB24
	s_lshl_b32 s60, s60, 1                                     // 000000008238: 8E3C813C
	s_lshl_b32 s61, s61, 1                                     // 00000000823C: 8E3D813D
	s_and_b32 s60, 0xfffeffff, s60                             // 000000008240: 863C3CFF FFFEFFFF
	s_and_b32 s61, 0xfffeffff, s61                             // 000000008248: 863D3DFF FFFEFFFF
	v_cndmask_b32_e64 v37, v37, v125, s[60:61]                 // 000000008250: D1000025 00F2FB25
	s_lshl_b32 s60, s60, 1                                     // 000000008258: 8E3C813C
	s_lshl_b32 s61, s61, 1                                     // 00000000825C: 8E3D813D
	s_and_b32 s60, 0xfffeffff, s60                             // 000000008260: 863C3CFF FFFEFFFF
	s_and_b32 s61, 0xfffeffff, s61                             // 000000008268: 863D3DFF FFFEFFFF
	v_cndmask_b32_e64 v38, v38, v125, s[60:61]                 // 000000008270: D1000026 00F2FB26
	s_lshl_b32 s60, s60, 1                                     // 000000008278: 8E3C813C
	s_lshl_b32 s61, s61, 1                                     // 00000000827C: 8E3D813D
	s_and_b32 s60, 0xfffeffff, s60                             // 000000008280: 863C3CFF FFFEFFFF
	s_and_b32 s61, 0xfffeffff, s61                             // 000000008288: 863D3DFF FFFEFFFF
	v_cndmask_b32_e64 v39, v39, v125, s[60:61]                 // 000000008290: D1000027 00F2FB27
	s_branch label_10BB                                        // 000000008298: BF820005

000000000000829c <label_10B6>:
	v_mov_b32_e32 v36, v125                                    // 00000000829C: 7E48037D
	v_mov_b32_e32 v37, v125                                    // 0000000082A0: 7E4A037D
	v_mov_b32_e32 v38, v125                                    // 0000000082A4: 7E4C037D
	v_mov_b32_e32 v39, v125                                    // 0000000082A8: 7E4E037D
	s_branch label_10BB                                        // 0000000082AC: BF820000

00000000000082b0 <label_10BB>:
	s_cmp_lt_i32 s99, 0x100                                    // 0000000082B0: BF04FF63 00000100
	s_cbranch_scc0 label_112C                                  // 0000000082B8: BF840069
	s_cmp_le_i32 s99, 64                                       // 0000000082BC: BF05C063
	s_cbranch_scc1 label_10CA                                  // 0000000082C0: BF85000A
	s_cmp_le_i32 s99, 0x80                                     // 0000000082C4: BF05FF63 00000080
	s_cbranch_scc1 label_10E2                                  // 0000000082CC: BF85001A
	s_cmp_lt_i32 s99, 0xc0                                     // 0000000082D0: BF04FF63 000000C0
	s_cbranch_scc1 label_10FA                                  // 0000000082D8: BF85002F
	s_cmp_lt_i32 s99, 0x100                                    // 0000000082DC: BF04FF63 00000100
	s_cbranch_scc1 label_1113                                  // 0000000082E4: BF850045
	s_branch label_112C                                        // 0000000082E8: BF82005D

00000000000082ec <label_10CA>:
	s_mov_b32 s60, 0                                           // 0000000082EC: BEBC0080
	v_and_b32_e32 v20, 15, v0                                  // 0000000082F0: 2628008F
	v_add_u32_e64 v20, v20, s60                                // 0000000082F4: D1340014 00007914
	v_mul_i32_i24_e64 v21, s46, 16                             // 0000000082FC: D1060015 0001202E
	v_add_u32_e32 v20, v20, v21                                // 000000008304: 68282B14
	v_cmp_lt_u32_e64 s[60:61], v20, s99                        // 000000008308: D0C9003C 0000C714
	s_nop 1                                                    // 000000008310: BF800001
	v_cndmask_b32_e64 v24, v125, v24, s[60:61]                 // 000000008314: D1000018 00F2317D
	v_cndmask_b32_e64 v25, v125, v25, s[60:61]                 // 00000000831C: D1000019 00F2337D
	v_cndmask_b32_e64 v26, v125, v26, s[60:61]                 // 000000008324: D100001A 00F2357D
	v_cndmask_b32_e64 v27, v125, v27, s[60:61]                 // 00000000832C: D100001B 00F2377D
	s_branch label_10F5                                        // 000000008334: BF820013

0000000000008338 <label_10E2>:
	s_mov_b32 s60, 64                                          // 000000008338: BEBC00C0
	v_and_b32_e32 v20, 15, v0                                  // 00000000833C: 2628008F
	v_add_u32_e64 v20, v20, s60                                // 000000008340: D1340014 00007914
	v_mul_i32_i24_e64 v21, s46, 16                             // 000000008348: D1060015 0001202E
	v_add_u32_e32 v20, v20, v21                                // 000000008350: 68282B14
	v_cmp_lt_u32_e64 s[60:61], v20, s99                        // 000000008354: D0C9003C 0000C714
	s_nop 1                                                    // 00000000835C: BF800001
	v_cndmask_b32_e64 v28, v125, v28, s[60:61]                 // 000000008360: D100001C 00F2397D
	v_cndmask_b32_e64 v29, v125, v29, s[60:61]                 // 000000008368: D100001D 00F23B7D
	v_cndmask_b32_e64 v30, v125, v30, s[60:61]                 // 000000008370: D100001E 00F23D7D
	v_cndmask_b32_e64 v31, v125, v31, s[60:61]                 // 000000008378: D100001F 00F23F7D
	s_branch label_110E                                        // 000000008380: BF820019

0000000000008384 <label_10F5>:
	v_mov_b32_e32 v28, v125                                    // 000000008384: 7E38037D
	v_mov_b32_e32 v29, v125                                    // 000000008388: 7E3A037D
	v_mov_b32_e32 v30, v125                                    // 00000000838C: 7E3C037D
	v_mov_b32_e32 v31, v125                                    // 000000008390: 7E3E037D
	s_branch label_110E                                        // 000000008394: BF820014

0000000000008398 <label_10FA>:
	s_mov_b32 s60, 0x80                                        // 000000008398: BEBC00FF 00000080
	v_and_b32_e32 v20, 15, v0                                  // 0000000083A0: 2628008F
	v_add_u32_e64 v20, v20, s60                                // 0000000083A4: D1340014 00007914
	v_mul_i32_i24_e64 v21, s46, 16                             // 0000000083AC: D1060015 0001202E
	v_add_u32_e32 v20, v20, v21                                // 0000000083B4: 68282B14
	v_cmp_lt_u32_e64 s[60:61], v20, s99                        // 0000000083B8: D0C9003C 0000C714
	s_nop 1                                                    // 0000000083C0: BF800001
	v_cndmask_b32_e64 v32, v125, v32, s[60:61]                 // 0000000083C4: D1000020 00F2417D
	v_cndmask_b32_e64 v33, v125, v33, s[60:61]                 // 0000000083CC: D1000021 00F2437D
	v_cndmask_b32_e64 v34, v125, v34, s[60:61]                 // 0000000083D4: D1000022 00F2457D
	v_cndmask_b32_e64 v35, v125, v35, s[60:61]                 // 0000000083DC: D1000023 00F2477D
	s_branch label_1127                                        // 0000000083E4: BF820019

00000000000083e8 <label_110E>:
	v_mov_b32_e32 v32, v125                                    // 0000000083E8: 7E40037D
	v_mov_b32_e32 v33, v125                                    // 0000000083EC: 7E42037D
	v_mov_b32_e32 v34, v125                                    // 0000000083F0: 7E44037D
	v_mov_b32_e32 v35, v125                                    // 0000000083F4: 7E46037D
	s_branch label_1127                                        // 0000000083F8: BF820014

00000000000083fc <label_1113>:
	s_mov_b32 s60, 0xc0                                        // 0000000083FC: BEBC00FF 000000C0
	v_and_b32_e32 v20, 15, v0                                  // 000000008404: 2628008F
	v_add_u32_e64 v20, v20, s60                                // 000000008408: D1340014 00007914
	v_mul_i32_i24_e64 v21, s46, 16                             // 000000008410: D1060015 0001202E
	v_add_u32_e32 v20, v20, v21                                // 000000008418: 68282B14
	v_cmp_lt_u32_e64 s[60:61], v20, s99                        // 00000000841C: D0C9003C 0000C714
	s_nop 1                                                    // 000000008424: BF800001
	v_cndmask_b32_e64 v36, v125, v36, s[60:61]                 // 000000008428: D1000024 00F2497D
	v_cndmask_b32_e64 v37, v125, v37, s[60:61]                 // 000000008430: D1000025 00F24B7D
	v_cndmask_b32_e64 v38, v125, v38, s[60:61]                 // 000000008438: D1000026 00F24D7D
	v_cndmask_b32_e64 v39, v125, v39, s[60:61]                 // 000000008440: D1000027 00F24F7D
	s_branch label_112C                                        // 000000008448: BF820005

000000000000844c <label_1127>:
	v_mov_b32_e32 v36, v125                                    // 00000000844C: 7E48037D
	v_mov_b32_e32 v37, v125                                    // 000000008450: 7E4A037D
	v_mov_b32_e32 v38, v125                                    // 000000008454: 7E4C037D
	v_mov_b32_e32 v39, v125                                    // 000000008458: 7E4E037D
	s_branch label_112C                                        // 00000000845C: BF820000

0000000000008460 <label_112C>:
	s_addk_i32 s74, 0x1                                        // 000000008460: B74A0001
	s_waitcnt lgkmcnt(8)                                       // 000000008464: BF8CC87F
	v_mfma_f32_16x16x32_f16 v[56:59], v[72:75], a[48:51], 0    // 000000008468: D3D40038 12026148
	v_exp_f32_e32 v24, v24                                     // 000000008470: 7E304118
	v_exp_f32_e32 v25, v25                                     // 000000008474: 7E324119
	v_mfma_f32_16x16x32_f16 v[56:59], v[76:79], a[52:55], v[56:59]// 000000008478: D3D40038 14E2694C
	v_exp_f32_e32 v26, v26                                     // 000000008480: 7E34411A
	v_exp_f32_e32 v27, v27                                     // 000000008484: 7E36411B
	v_mfma_f32_16x16x32_f16 v[56:59], v[80:83], a[56:59], v[56:59]// 000000008488: D3D40038 14E27150
	ds_read_b64_tr_b16 a[112:113], v10 offset:12288            // 000000008490: DBC63000 7000000A
	ds_read_b64_tr_b16 a[114:115], v10 offset:12544            // 000000008498: DBC63100 7200000A
	v_mfma_f32_16x16x32_f16 v[56:59], v[84:87], a[60:63], v[56:59]// 0000000084A0: D3D40038 14E27954
	v_fma_f32 v36, v36, s57, -v104                             // 0000000084A8: D1CB0024 85A07324
	v_fma_f32 v37, v37, s57, -v105                             // 0000000084B0: D1CB0025 85A47325
	v_exp_f32_e32 v28, v28                                     // 0000000084B8: 7E38411C
	v_exp_f32_e32 v29, v29                                     // 0000000084BC: 7E3A411D
	v_mfma_f32_16x16x32_f16 v[60:63], v[72:75], a[64:67], 0    // 0000000084C0: D3D4003C 12028148
	ds_read_b64_tr_b16 a[116:117], v10 offset:13312            // 0000000084C8: DBC63400 7400000A
	ds_read_b64_tr_b16 a[118:119], v10 offset:13568            // 0000000084D0: DBC63500 7600000A
	v_mfma_f32_16x16x32_f16 v[60:63], v[76:79], a[68:71], v[60:63]// 0000000084D8: D3D4003C 14F2894C
	v_fma_f32 v38, v38, s57, -v106                             // 0000000084E0: D1CB0026 85A87326
	v_fma_f32 v39, v39, s57, -v107                             // 0000000084E8: D1CB0027 85AC7327
	v_exp_f32_e32 v30, v30                                     // 0000000084F0: 7E3C411E
	v_exp_f32_e32 v31, v31                                     // 0000000084F4: 7E3E411F
	v_mfma_f32_16x16x32_f16 v[60:63], v[80:83], a[72:75], v[60:63]// 0000000084F8: D3D4003C 14F29150
	v_exp_f32_e32 v32, v32                                     // 000000008500: 7E404120
	v_exp_f32_e32 v33, v33                                     // 000000008504: 7E424121
	v_mfma_f32_16x16x32_f16 v[60:63], v[84:87], a[76:79], v[60:63]// 000000008508: D3D4003C 14F29954
	v_cvt_pk_f16_f32 v116, v24, v25                            // 000000008510: D2670074 00023318
	v_cvt_pk_f16_f32 v117, v26, v27                            // 000000008518: D2670075 0002371A
	v_exp_f32_e32 v34, v34                                     // 000000008520: 7E444122
	v_mfma_f32_16x16x32_f16 v[64:67], v[72:75], a[80:83], 0    // 000000008524: D3D40040 1202A148
	v_exp_f32_e32 v35, v35                                     // 00000000852C: 7E464123
	v_exp_f32_e32 v36, v36                                     // 000000008530: 7E484124
	v_mfma_f32_16x16x32_f16 v[64:67], v[76:79], a[84:87], v[64:67]// 000000008534: D3D40040 1502A94C
	v_cvt_pk_f16_f32 v118, v28, v29                            // 00000000853C: D2670076 00023B1C
	v_cvt_pk_f16_f32 v119, v30, v31                            // 000000008544: D2670077 00023F1E
	v_exp_f32_e32 v37, v37                                     // 00000000854C: 7E4A4125
	v_mfma_f32_16x16x32_f16 v[64:67], v[80:83], a[88:91], v[64:67]// 000000008550: D3D40040 1502B150
	ds_read_b64_tr_b16 a[120:121], v10 offset:14336            // 000000008558: DBC63800 7800000A
	ds_read_b64_tr_b16 a[122:123], v10 offset:14592            // 000000008560: DBC63900 7A00000A
	v_mfma_f32_16x16x32_f16 v[64:67], v[84:87], a[92:95], v[64:67]// 000000008568: D3D40040 1502B954
	v_exp_f32_e32 v38, v38                                     // 000000008570: 7E4C4126
	v_exp_f32_e32 v39, v39                                     // 000000008574: 7E4E4127
	v_permlane16_swap_b32_e32 v116, v118                       // 000000008578: 7EE8B376
	v_mfma_f32_16x16x32_f16 v[68:71], v[72:75], a[96:99], 0    // 00000000857C: D3D40044 1202C148
	ds_read_b64_tr_b16 a[124:125], v10 offset:15360            // 000000008584: DBC63C00 7C00000A
	ds_read_b64_tr_b16 a[126:127], v10 offset:15616            // 00000000858C: DBC63D00 7E00000A
	v_mfma_f32_16x16x32_f16 v[68:71], v[76:79], a[100:103], v[68:71]// 000000008594: D3D40044 1512C94C
	v_cvt_pk_f16_f32 v120, v32, v33                            // 00000000859C: D2670078 00024320
	v_cvt_pk_f16_f32 v121, v34, v35                            // 0000000085A4: D2670079 00024722
	v_cvt_pk_f16_f32 v122, v36, v37                            // 0000000085AC: D267007A 00024B24
	v_cvt_pk_f16_f32 v123, v38, v39                            // 0000000085B4: D267007B 00024F26
	v_permlane16_swap_b32_e32 v117, v119                       // 0000000085BC: 7EEAB377
	v_mfma_f32_16x16x32_f16 v[68:71], v[80:83], a[104:107], v[68:71]// 0000000085C0: D3D40044 1512D150
	v_permlane16_swap_b32_e32 v120, v122                       // 0000000085C8: 7EF0B37A
	v_mfma_f32_16x16x32_f16 v[68:71], v[84:87], a[108:111], v[68:71]// 0000000085CC: D3D40044 1512D954
	v_permlane16_swap_b32_e32 v121, v123                       // 0000000085D4: 7EF2B37B
	s_waitcnt lgkmcnt(8)                                       // 0000000085D8: BF8CC87F
	v_mfma_f32_32x32x16_f16 v[126:141], v[88:91], v[116:119], v[126:141]// 0000000085DC: D3D5007E 05FAE958
	ds_read_b64_tr_b16 a[0:1], v15                             // 0000000085E4: DBC60000 0000000F
	ds_read_b64_tr_b16 a[2:3], v15 offset:256                  // 0000000085EC: DBC60100 0200000F
	ds_read_b64_tr_b16 a[4:5], v16                             // 0000000085F4: DBC60000 04000010
	ds_read_b64_tr_b16 a[6:7], v16 offset:256                  // 0000000085FC: DBC60100 06000010
	buffer_atomic_add_f32 v110, v6, s[32:35], 0 offen          // 000000008604: E1341000 80086E06
	v_mfma_f32_32x32x16_f16 v[142:157], v[92:95], v[116:119], v[142:157]// 00000000860C: D3D5008E 063AE95C
	v_subrev_f32_dpp v56, v124, v56 quad_perm:[0,0,0,0] row_mask:0xf bank_mask:0xf// 000000008614: 067070FA FF00007C
	v_subrev_f32_dpp v57, v124, v57 quad_perm:[1,1,1,1] row_mask:0xf bank_mask:0xf// 00000000861C: 067272FA FF00557C
	v_subrev_f32_dpp v58, v124, v58 quad_perm:[2,2,2,2] row_mask:0xf bank_mask:0xf// 000000008624: 067474FA FF00AA7C
	v_subrev_f32_dpp v59, v124, v59 quad_perm:[3,3,3,3] row_mask:0xf bank_mask:0xf// 00000000862C: 067676FA FF00FF7C
	v_subrev_f32_dpp v60, v124, v60 quad_perm:[0,0,0,0] row_mask:0xf bank_mask:0xf// 000000008634: 067878FA FF00007C
	v_subrev_f32_dpp v61, v124, v61 quad_perm:[1,1,1,1] row_mask:0xf bank_mask:0xf// 00000000863C: 067A7AFA FF00557C
	v_subrev_f32_dpp v62, v124, v62 quad_perm:[2,2,2,2] row_mask:0xf bank_mask:0xf// 000000008644: 067C7CFA FF00AA7C
	v_subrev_f32_dpp v63, v124, v63 quad_perm:[3,3,3,3] row_mask:0xf bank_mask:0xf// 00000000864C: 067E7EFA FF00FF7C
	v_mul_f32_e32 v56, v24, v56                                // 000000008654: 0A707118
	v_mul_f32_e32 v57, v25, v57                                // 000000008658: 0A727319
	v_mfma_f32_32x32x16_f16 v[158:173], v[96:99], v[116:119], v[158:173]// 00000000865C: D3D5009E 067AE960
	ds_read_b64_tr_b16 a[8:9], v15 offset:8192                 // 000000008664: DBC62000 0800000F
	ds_read_b64_tr_b16 a[10:11], v15 offset:8448               // 00000000866C: DBC62100 0A00000F
	ds_read_b64_tr_b16 a[12:13], v16 offset:8192               // 000000008674: DBC62000 0C000010
	ds_read_b64_tr_b16 a[14:15], v16 offset:8448               // 00000000867C: DBC62100 0E000010
	v_mfma_f32_32x32x16_f16 v[174:189], v[100:103], v[116:119], v[174:189]// 000000008684: D3D500AE 06BAE964
	v_mul_f32_e32 v58, v26, v58                                // 00000000868C: 0A74751A
	v_mul_f32_e32 v59, v27, v59                                // 000000008690: 0A76771B
	v_mul_f32_e32 v60, v28, v60                                // 000000008694: 0A78791C
	v_mul_f32_e32 v61, v29, v61                                // 000000008698: 0A7A7B1D
	v_mul_f32_e32 v62, v30, v62                                // 00000000869C: 0A7C7D1E
	v_mul_f32_e32 v63, v31, v63                                // 0000000086A0: 0A7E7F1F
	v_cvt_pk_f16_f32 v56, v56, v57                             // 0000000086A4: D2670038 00027338
	v_cvt_pk_f16_f32 v57, v58, v59                             // 0000000086AC: D2670039 0002773A
	v_cvt_pk_f16_f32 v58, v60, v61                             // 0000000086B4: D267003A 00027B3C
	v_cvt_pk_f16_f32 v59, v62, v63                             // 0000000086BC: D267003B 00027F3E
	v_subrev_f32_dpp v64, v124, v64 quad_perm:[0,0,0,0] row_mask:0xf bank_mask:0xf// 0000000086C4: 068080FA FF00007C
	v_subrev_f32_dpp v65, v124, v65 quad_perm:[1,1,1,1] row_mask:0xf bank_mask:0xf// 0000000086CC: 068282FA FF00557C
	v_subrev_f32_dpp v66, v124, v66 quad_perm:[2,2,2,2] row_mask:0xf bank_mask:0xf// 0000000086D4: 068484FA FF00AA7C
	v_subrev_f32_dpp v67, v124, v67 quad_perm:[3,3,3,3] row_mask:0xf bank_mask:0xf// 0000000086DC: 068686FA FF00FF7C
	v_mfma_f32_32x32x16_f16 v[190:205], v[88:91], v[120:123], v[190:205]// 0000000086E4: D3D500BE 06FAF158
	ds_read_b64_tr_b16 a[16:17], v15 offset:16384              // 0000000086EC: DBC64000 1000000F
	ds_read_b64_tr_b16 a[18:19], v15 offset:16640              // 0000000086F4: DBC64100 1200000F
	ds_write_b64 v12, v[56:57] offset:32768                    // 0000000086FC: D89A8000 0000380C
	ds_write_b64 v12, v[58:59] offset:35072                    // 000000008704: D89A8900 00003A0C
	buffer_atomic_add_f32 v111, v7, s[32:35], 0 offen          // 00000000870C: E1341000 80086F07
	v_mfma_f32_32x32x16_f16 v[206:221], v[92:95], v[120:123], v[206:221]// 000000008714: D3D500CE 073AF15C
	v_subrev_f32_dpp v68, v124, v68 quad_perm:[0,0,0,0] row_mask:0xf bank_mask:0xf// 00000000871C: 068888FA FF00007C
	v_subrev_f32_dpp v69, v124, v69 quad_perm:[1,1,1,1] row_mask:0xf bank_mask:0xf// 000000008724: 068A8AFA FF00557C
	v_subrev_f32_dpp v70, v124, v70 quad_perm:[2,2,2,2] row_mask:0xf bank_mask:0xf// 00000000872C: 068C8CFA FF00AA7C
	v_subrev_f32_dpp v71, v124, v71 quad_perm:[3,3,3,3] row_mask:0xf bank_mask:0xf// 000000008734: 068E8EFA FF00FF7C
	v_mul_f32_e32 v64, v32, v64                                // 00000000873C: 0A808120
	v_mul_f32_e32 v65, v33, v65                                // 000000008740: 0A828321
	v_mul_f32_e32 v66, v34, v66                                // 000000008744: 0A848522
	v_mul_f32_e32 v67, v35, v67                                // 000000008748: 0A868723
	v_mul_f32_e32 v68, v36, v68                                // 00000000874C: 0A888924
	v_mul_f32_e32 v69, v37, v69                                // 000000008750: 0A8A8B25
	v_mul_f32_e32 v70, v38, v70                                // 000000008754: 0A8C8D26
	v_mul_f32_e32 v71, v39, v71                                // 000000008758: 0A8E8F27
	v_cvt_pk_f16_f32 v60, v64, v65                             // 00000000875C: D267003C 00028340
	v_cvt_pk_f16_f32 v61, v66, v67                             // 000000008764: D267003D 00028742
	v_cvt_pk_f16_f32 v62, v68, v69                             // 00000000876C: D267003E 00028B44
	v_cvt_pk_f16_f32 v63, v70, v71                             // 000000008774: D267003F 00028F46
	v_mfma_f32_32x32x16_f16 v[222:237], v[96:99], v[120:123], v[222:237]// 00000000877C: D3D500DE 077AF160
	ds_read_b32 v104, v13 offset:41984                         // 000000008784: D86CA400 6800000D
	ds_read_b32 v124, v13 offset:42240                         // 00000000878C: D86CA500 7C00000D
	ds_write_b64 v12, v[60:61] offset:37376                    // 000000008794: D89A9200 00003C0C
	ds_write_b64 v12, v[62:63] offset:39680                    // 00000000879C: D89A9B00 00003E0C
	v_mfma_f32_32x32x16_f16 v[238:253], v[100:103], v[120:123], v[238:253]// 0000000087A4: D3D500EE 07BAF164
	v_permlane16_swap_b32_e32 v56, v58                         // 0000000087AC: 7E70B33A
	v_permlane16_swap_b32_e32 v57, v59                         // 0000000087B0: 7E72B33B
	s_nop 1                                                    // 0000000087B4: BF800001
	s_waitcnt lgkmcnt(12)                                      // 0000000087B8: BF8CCC7F
	v_mfma_f32_32x32x16_f16 a[128:143], a[112:115], v[56:59], a[128:143]// 0000000087BC: D3D58080 0E027170
	ds_read_b64_tr_b16 a[20:21], v16 offset:16384              // 0000000087C4: DBC64000 14000010
	ds_read_b64_tr_b16 a[22:23], v16 offset:16640              // 0000000087CC: DBC64100 16000010
	ds_read_b64_tr_b16 a[24:25], v15 offset:24576              // 0000000087D4: DBC66000 1800000F
	ds_read_b64_tr_b16 a[26:27], v15 offset:24832              // 0000000087DC: DBC66100 1A00000F
	ds_read_b64_tr_b16 a[28:29], v16 offset:24576              // 0000000087E4: DBC66000 1C000010
	ds_read_b64_tr_b16 a[30:31], v16 offset:24832              // 0000000087EC: DBC66100 1E000010
	ds_read_b64_tr_b16 a[32:33], v15 offset:32768              // 0000000087F4: DBC68000 2000000F
	ds_read_b64_tr_b16 a[34:35], v15 offset:33024              // 0000000087FC: DBC68100 2200000F
	v_mfma_f32_32x32x16_f16 a[144:159], a[116:119], v[56:59], a[144:159]// 000000008804: D3D58090 0E427174
	v_permlane16_swap_b32_e32 v60, v62                         // 00000000880C: 7E78B33E
	buffer_atomic_add_f32 v112, v4, s[32:35], 0 offen offset:64// 000000008810: E1341040 80087004
	s_waitcnt lgkmcnt(8)                                       // 000000008818: BF8CC87F
	s_barrier                                                  // 00000000881C: BF8A0000
	v_mfma_f32_32x32x16_f16 a[160:175], a[120:123], v[56:59], a[160:175]// 000000008820: D3D580A0 0E827178
	ds_read_b64_tr_b16 v[24:25], v11 offset:32768              // 000000008828: D9C68000 1800000B
	ds_read_b64_tr_b16 v[26:27], v11 offset:32800              // 000000008830: D9C68020 1A00000B
	ds_read_b64_tr_b16 v[28:29], v11 offset:33920              // 000000008838: D9C68480 1C00000B
	ds_read_b64_tr_b16 v[30:31], v11 offset:33952              // 000000008840: D9C684A0 1E00000B
	ds_read_b64_tr_b16 v[32:33], v11 offset:35072              // 000000008848: D9C68900 2000000B
	ds_read_b64_tr_b16 v[34:35], v11 offset:35104              // 000000008850: D9C68920 2200000B
	ds_read_b64_tr_b16 v[36:37], v11 offset:36224              // 000000008858: D9C68D80 2400000B
	ds_read_b64_tr_b16 v[38:39], v11 offset:36256              // 000000008860: D9C68DA0 2600000B
	v_mfma_f32_32x32x16_f16 a[176:191], a[124:127], v[56:59], a[176:191]// 000000008868: D3D580B0 0EC2717C
	v_permlane16_swap_b32_e32 v61, v63                         // 000000008870: 7E7AB33F
	v_mul_f32_e32 v104, s48, v104                              // 000000008874: 0AD0D030
	buffer_atomic_add_f32 v113, v5, s[32:35], 0 offen offset:64// 000000008878: E1341040 80087105
	v_mfma_f32_32x32x16_f16 a[192:207], a[112:115], v[60:63], a[192:207]// 000000008880: D3D580C0 0F027970
	ds_read_b64_tr_b16 v[40:41], v11 offset:37376              // 000000008888: D9C69200 2800000B
	ds_read_b64_tr_b16 v[42:43], v11 offset:37408              // 000000008890: D9C69220 2A00000B
	ds_read_b64_tr_b16 v[44:45], v11 offset:38528              // 000000008898: D9C69680 2C00000B
	ds_read_b64_tr_b16 v[46:47], v11 offset:38560              // 0000000088A0: D9C696A0 2E00000B
	ds_read_b64_tr_b16 a[36:37], v16 offset:32768              // 0000000088A8: DBC68000 24000010
	ds_read_b64_tr_b16 a[38:39], v16 offset:33024              // 0000000088B0: DBC68100 26000010
	ds_read_b64_tr_b16 a[40:41], v15 offset:40960              // 0000000088B8: DBC6A000 2800000F
	ds_read_b64_tr_b16 a[42:43], v15 offset:41216              // 0000000088C0: DBC6A100 2A00000F
	v_mfma_f32_32x32x16_f16 a[208:223], a[116:119], v[60:63], a[208:223]// 0000000088C8: D3D580D0 0F427974
	v_mov_b32_dpp v107, v104 quad_perm:[3,3,3,3] row_mask:0xf bank_mask:0xf// 0000000088D0: 7ED602FA FF00FF68
	v_mov_b32_dpp v106, v104 quad_perm:[2,2,2,2] row_mask:0xf bank_mask:0xf// 0000000088D8: 7ED402FA FF00AA68
	buffer_atomic_add_f32 v114, v6, s[32:35], 0 offen offset:64// 0000000088E0: E1341040 80087206
	v_mfma_f32_32x32x16_f16 a[224:239], a[120:123], v[60:63], a[224:239]// 0000000088E8: D3D580E0 0F827978
	ds_read_b64_tr_b16 v[48:49], v11 offset:39680              // 0000000088F0: D9C69B00 3000000B
	ds_read_b64_tr_b16 v[50:51], v11 offset:39712              // 0000000088F8: D9C69B20 3200000B
	ds_read_b64_tr_b16 v[52:53], v11 offset:40832              // 000000008900: D9C69F80 3400000B
	ds_read_b64_tr_b16 v[54:55], v11 offset:40864              // 000000008908: D9C69FA0 3600000B
	ds_read_b64_tr_b16 a[44:45], v16 offset:40960              // 000000008910: DBC6A000 2C000010
	ds_read_b64_tr_b16 a[46:47], v16 offset:41216              // 000000008918: DBC6A100 2E000010
	v_mfma_f32_32x32x16_f16 a[240:255], a[124:127], v[60:63], a[240:255]// 000000008920: D3D580F0 0FC2797C
	v_mov_b32_dpp v105, v104 quad_perm:[1,1,1,1] row_mask:0xf bank_mask:0xf// 000000008928: 7ED202FA FF005568
	v_mov_b32_dpp v104, v104 quad_perm:[0,0,0,0] row_mask:0xf bank_mask:0xf// 000000008930: 7ED002FA FF000068
	buffer_atomic_add_f32 v115, v7, s[32:35], 0 offen offset:64// 000000008938: E1341040 80087307
	s_waitcnt vmcnt(8) lgkmcnt(6)                              // 000000008940: BF8C0678
	s_barrier                                                  // 000000008944: BF8A0000
	v_mfma_f32_16x16x32_f16 v[108:111], v[24:27], a[0:3], 0    // 000000008948: D3D4006C 12020118
	ds_read_b64_tr_b16 v[56:57], v15 offset:49152              // 000000008950: D9C6C000 3800000F
	ds_read_b64_tr_b16 v[58:59], v15 offset:49408              // 000000008958: D9C6C100 3A00000F
	ds_read_b64_tr_b16 v[60:61], v16 offset:49152              // 000000008960: D9C6C000 3C000010
	ds_read_b64_tr_b16 v[62:63], v16 offset:49408              // 000000008968: D9C6C100 3E000010
	v_mfma_f32_16x16x32_f16 v[108:111], v[28:31], a[8:11], v[108:111]// 000000008970: D3D4006C 15B2111C
	s_mov_b32 m0, s84                                          // 000000008978: BEFC0054
	buffer_load_dwordx4 v1, s[8:11], 0 idxen lds               // 00000000897C: E05D2000 80020001
	v_mfma_f32_16x16x32_f16 v[108:111], v[32:35], a[16:19], v[108:111]// 000000008984: D3D4006C 15B22120
	ds_read_b64_tr_b16 v[64:65], v15 offset:57344              // 00000000898C: D9C6E000 4000000F
	ds_read_b64_tr_b16 v[66:67], v15 offset:57600              // 000000008994: D9C6E100 4200000F
	ds_read_b64_tr_b16 v[68:69], v16 offset:57344              // 00000000899C: D9C6E000 44000010
	ds_read_b64_tr_b16 v[70:71], v16 offset:57600              // 0000000089A4: D9C6E100 46000010
	v_mfma_f32_16x16x32_f16 v[108:111], v[36:39], a[24:27], v[108:111]// 0000000089AC: D3D4006C 15B23124
	s_mov_b32 m0, s88                                          // 0000000089B4: BEFC0058
	buffer_load_dwordx4 v254, s[20:23], 0 idxen lds            // 0000000089B8: E05D2000 800500FE
	v_mfma_f32_16x16x32_f16 v[108:111], v[40:43], a[32:35], v[108:111]// 0000000089C0: D3D4006C 15B24128
	ds_read_b128 a[112:115], v9                                // 0000000089C8: DBFE0000 70000009
	ds_read_b128 a[116:119], v9 offset:1024                    // 0000000089D0: DBFE0400 74000009
	v_mfma_f32_16x16x32_f16 v[108:111], v[44:47], a[40:43], v[108:111]// 0000000089D8: D3D4006C 15B2512C
	s_mov_b32 m0, s80                                          // 0000000089E0: BEFC0050
	buffer_load_dword v8, s[24:27], 0 idxen lds                // 0000000089E4: E0512000 80060008
	s_waitcnt lgkmcnt(4)                                       // 0000000089EC: BF8CC47F
	s_barrier                                                  // 0000000089F0: BF8A0000
	v_mfma_f32_16x16x32_f16 v[108:111], v[48:51], v[56:59], v[108:111]// 0000000089F4: D3D4006C 05B27130
	ds_read_b128 a[120:123], v9 offset:2048                    // 0000000089FC: DBFE0800 78000009
	ds_read_b128 a[124:127], v9 offset:3072                    // 000000008A04: DBFE0C00 7C000009
	v_mfma_f32_16x16x32_f16 v[108:111], v[52:55], v[64:67], v[108:111]// 000000008A0C: D3D4006C 05B28134
	s_add_u32 s60, 64, s59                                     // 000000008A14: 803C3BC0
	s_cmp_lt_u32 s60, s58                                      // 000000008A18: BF0A3A3C
	s_cselect_b32 s68, s68, 0                                  // 000000008A1C: 85448044
	s_cselect_b32 s98, s98, 0                                  // 000000008A20: 85628062
	s_cselect_b32 s69, s69, 0                                  // 000000008A24: 85458045
	v_mfma_f32_16x16x32_f16 v[112:115], v[24:27], a[4:7], 0    // 000000008A28: D3D40070 12020918
	ds_read_b128 a[0:3], v14                                   // 000000008A30: DBFE0000 0000000E
	ds_read_b128 a[4:7], v14 offset:1024                       // 000000008A38: DBFE0400 0400000E
	v_mfma_f32_16x16x32_f16 v[112:115], v[28:31], a[12:15], v[112:115]// 000000008A40: D3D40070 15C2191C
	v_add_u32_e32 v1, s68, v1                                  // 000000008A48: 68020244
	v_add_u32_e32 v254, s98, v254                              // 000000008A4C: 69FDFC62
	v_add_u32_e32 v8, s69, v8                                  // 000000008A50: 68101045
	v_mfma_f32_16x16x32_f16 v[112:115], v[32:35], a[20:23], v[112:115]// 000000008A54: D3D40070 15C22920
	ds_read_b128 a[8:11], v14 offset:2048                      // 000000008A5C: DBFE0800 0800000E
	ds_read_b128 a[12:15], v14 offset:3072                     // 000000008A64: DBFE0C00 0C00000E
	v_mfma_f32_16x16x32_f16 v[112:115], v[36:39], a[28:31], v[112:115]// 000000008A6C: D3D40070 15C23924
	v_mul_f32_e32 v108, s47, v108                              // 000000008A74: 0AD8D82F
	v_mul_f32_e32 v109, s47, v109                              // 000000008A78: 0ADADA2F
	v_mfma_f32_16x16x32_f16 v[112:115], v[40:43], a[36:39], v[112:115]// 000000008A7C: D3D40070 15C24928
	ds_read_b128 a[16:19], v14 offset:16384                    // 000000008A84: DBFE4000 1000000E
	ds_read_b128 a[20:23], v14 offset:17408                    // 000000008A8C: DBFE4400 1400000E
	v_mfma_f32_16x16x32_f16 v[112:115], v[44:47], a[44:47], v[112:115]// 000000008A94: D3D40070 15C2592C
	v_mul_f32_e32 v110, s47, v110                              // 000000008A9C: 0ADCDC2F
	s_cmp_ge_u32 s59, s73                                      // 000000008AA0: BF09493B
	s_cselect_b32 s66, s67, s66                                // 000000008AA4: 85424243
	s_waitcnt lgkmcnt(10)                                      // 000000008AA8: BF8CCA7F
	v_mfma_f32_16x16x32_f16 v[112:115], v[48:51], v[60:63], v[112:115]// 000000008AAC: D3D40070 05C27930
	ds_read_b128 a[24:27], v14 offset:18432                    // 000000008AB4: DBFE4800 1800000E
	ds_read_b128 a[28:31], v14 offset:19456                    // 000000008ABC: DBFE4C00 1C00000E
	v_mfma_f32_16x16x32_f16 v[112:115], v[52:55], v[68:71], v[112:115]// 000000008AC4: D3D40070 05C28934
	s_addk_i32 s59, 0x10                                       // 000000008ACC: B73B0010
	v_mul_f32_e32 v111, s47, v111                              // 000000008AD0: 0ADEDE2F
	s_cmp_lt_i32 s59, s58                                      // 000000008AD4: BF043A3B
	s_cbranch_scc0 label_12CC                                  // 000000008AD8: BF840001
	s_branch label_0653                                        // 000000008ADC: BF82F39B

0000000000008ae0 <label_12CC>:
	s_nop 0                                                    // 000000008AE0: BF800000
	s_nop 0                                                    // 000000008AE4: BF800000
	s_branch label_1F48                                        // 000000008AE8: BF820C65

0000000000008aec <label_12CF>:
	s_waitcnt lgkmcnt(2)                                       // 000000008AEC: BF8CC27F
	v_mfma_f32_16x16x32_f16 v[24:27], a[112:115], a[0:3], 0    // 000000008AF0: D3D40018 1A020170
	v_add_u32_e32 v4, s66, v4                                  // 000000008AF8: 68080842
	v_add_u32_e32 v5, s66, v5                                  // 000000008AFC: 680A0A42
	v_add_u32_e32 v6, s66, v6                                  // 000000008B00: 680C0C42
	v_add_u32_e32 v7, s66, v7                                  // 000000008B04: 680E0E42
	v_mfma_f32_16x16x32_f16 v[24:27], a[116:119], a[4:7], v[24:27]// 000000008B08: D3D40018 1C620974
	ds_read_b128 a[32:35], v14 offset:32768                    // 000000008B10: DBFE8000 2000000E
	ds_read_b128 a[36:39], v14 offset:33792                    // 000000008B18: DBFE8400 2400000E
	v_mfma_f32_16x16x32_f16 v[24:27], a[120:123], a[8:11], v[24:27]// 000000008B20: D3D40018 1C621178
	v_mul_f32_e32 v112, s47, v112                              // 000000008B28: 0AE0E02F
	v_mul_f32_e32 v113, s47, v113                              // 000000008B2C: 0AE2E22F
	v_mfma_f32_16x16x32_f16 v[24:27], a[124:127], a[12:15], v[24:27]// 000000008B30: D3D40018 1C62197C
	ds_read_b128 a[40:43], v14 offset:34816                    // 000000008B38: DBFE8800 2800000E
	ds_read_b128 a[44:47], v14 offset:35840                    // 000000008B40: DBFE8C00 2C00000E
	v_mfma_f32_16x16x32_f16 v[28:31], a[112:115], a[16:19], 0  // 000000008B48: D3D4001C 1A022170
	v_mul_f32_e32 v114, s47, v114                              // 000000008B50: 0AE4E42F
	v_mul_f32_e32 v115, s47, v115                              // 000000008B54: 0AE6E62F
	v_mfma_f32_16x16x32_f16 v[28:31], a[116:119], a[20:23], v[28:31]// 000000008B58: D3D4001C 1C722974
	ds_read_b128 v[56:59], v14 offset:49152                    // 000000008B60: D9FEC000 3800000E
	ds_read_b128 v[60:63], v14 offset:50176                    // 000000008B68: D9FEC400 3C00000E
	s_waitcnt lgkmcnt(6)                                       // 000000008B70: BF8CC67F
	v_mfma_f32_16x16x32_f16 v[28:31], a[120:123], a[24:27], v[28:31]// 000000008B74: D3D4001C 1C723178
	v_fma_f32 v24, v24, s57, -v104                             // 000000008B7C: D1CB0018 85A07318
	v_fma_f32 v25, v25, s57, -v105                             // 000000008B84: D1CB0019 85A47319
	v_mfma_f32_16x16x32_f16 v[28:31], a[124:127], a[28:31], v[28:31]// 000000008B8C: D3D4001C 1C72397C
	ds_read_b128 v[64:67], v14 offset:51200                    // 000000008B94: D9FEC800 4000000E
	ds_read_b128 v[68:71], v14 offset:52224                    // 000000008B9C: D9FECC00 4400000E
	s_waitcnt lgkmcnt(6)                                       // 000000008BA4: BF8CC67F
	v_mfma_f32_16x16x32_f16 v[32:35], a[112:115], a[32:35], 0  // 000000008BA8: D3D40020 1A024170
	v_fma_f32 v26, v26, s57, -v106                             // 000000008BB0: D1CB001A 85A8731A
	v_fma_f32 v27, v27, s57, -v107                             // 000000008BB8: D1CB001B 85AC731B
	buffer_atomic_add_f32 v108, v4, s[32:35], 0 offen          // 000000008BC0: E1341000 80086C04
	v_mfma_f32_16x16x32_f16 v[32:35], a[116:119], a[36:39], v[32:35]// 000000008BC8: D3D40020 1C824974
	ds_read_b128 v[72:75], v9 offset:16384                     // 000000008BD0: D9FE4000 48000009
	ds_read_b128 v[76:79], v9 offset:17408                     // 000000008BD8: D9FE4400 4C000009
	s_waitcnt lgkmcnt(6)                                       // 000000008BE0: BF8CC67F
	v_mfma_f32_16x16x32_f16 v[32:35], a[120:123], a[40:43], v[32:35]// 000000008BE4: D3D40020 1C825178
	v_fma_f32 v28, v28, s57, -v104                             // 000000008BEC: D1CB001C 85A0731C
	v_fma_f32 v29, v29, s57, -v105                             // 000000008BF4: D1CB001D 85A4731D
	v_mfma_f32_16x16x32_f16 v[32:35], a[124:127], a[44:47], v[32:35]// 000000008BFC: D3D40020 1C82597C
	ds_read_b128 v[80:83], v9 offset:18432                     // 000000008C04: D9FE4800 50000009
	ds_read_b128 v[84:87], v9 offset:19456                     // 000000008C0C: D9FE4C00 54000009
	s_waitcnt lgkmcnt(6)                                       // 000000008C14: BF8CC67F
	v_mfma_f32_16x16x32_f16 v[36:39], a[112:115], v[56:59], 0  // 000000008C18: D3D40024 0A027170
	v_fma_f32 v30, v30, s57, -v106                             // 000000008C20: D1CB001E 85A8731E
	v_fma_f32 v31, v31, s57, -v107                             // 000000008C28: D1CB001F 85AC731F
	v_mfma_f32_16x16x32_f16 v[36:39], a[116:119], v[60:63], v[36:39]// 000000008C30: D3D40024 0C927974
	ds_read_b64_tr_b16 v[88:89], v10 offset:16384              // 000000008C38: D9C64000 5800000A
	ds_read_b64_tr_b16 v[90:91], v10 offset:16640              // 000000008C40: D9C64100 5A00000A
	ds_read_b64_tr_b16 v[92:93], v10 offset:17408              // 000000008C48: D9C64400 5C00000A
	ds_read_b64_tr_b16 v[94:95], v10 offset:17664              // 000000008C50: D9C64500 5E00000A
	s_waitcnt lgkmcnt(8)                                       // 000000008C58: BF8CC87F
	v_mfma_f32_16x16x32_f16 v[36:39], a[120:123], v[64:67], v[36:39]// 000000008C5C: D3D40024 0C928178
	v_fma_f32 v32, v32, s57, -v104                             // 000000008C64: D1CB0020 85A07320
	v_fma_f32 v33, v33, s57, -v105                             // 000000008C6C: D1CB0021 85A47321
	v_fma_f32 v34, v34, s57, -v106                             // 000000008C74: D1CB0022 85A87322
	v_fma_f32 v35, v35, s57, -v107                             // 000000008C7C: D1CB0023 85AC7323
	buffer_atomic_add_f32 v109, v5, s[32:35], 0 offen          // 000000008C84: E1341000 80086D05
	v_mfma_f32_16x16x32_f16 v[36:39], a[124:127], v[68:71], v[36:39]// 000000008C8C: D3D40024 0C92897C
	ds_read_b64_tr_b16 v[96:97], v10 offset:18432              // 000000008C94: D9C64800 6000000A
	ds_read_b64_tr_b16 v[98:99], v10 offset:18688              // 000000008C9C: D9C64900 6200000A
	ds_read_b64_tr_b16 v[100:101], v10 offset:19456            // 000000008CA4: D9C64C00 6400000A
	ds_read_b64_tr_b16 v[102:103], v10 offset:19712            // 000000008CAC: D9C64D00 6600000A
	s_cmp_lt_i32 s74, 16                                       // 000000008CB4: BF04904A
	s_cbranch_scc0 label_13DD                                  // 000000008CB8: BF84009A
	s_mov_b32 s60, 0xffe0fffe                                  // 000000008CBC: BEBC00FF FFE0FFFE
	s_mov_b32 s61, 0xe000fe00                                  // 000000008CC4: BEBD00FF E000FE00
	s_nop 0                                                    // 000000008CCC: BF800000
	s_add_u32 s62, 0, s46                                      // 000000008CD0: 803E2E80
	s_cmp_lt_i32 s74, s62                                      // 000000008CD4: BF043E4A
	s_cbranch_scc1 label_1378                                  // 000000008CD8: BF85002D
	s_cmp_eq_i32 s74, s62                                      // 000000008CDC: BF003E4A
	s_cbranch_scc1 label_135D                                  // 000000008CE0: BF850010
	s_add_u32 s62, 4, s46                                      // 000000008CE4: 803E2E84
	s_cmp_lt_i32 s74, s62                                      // 000000008CE8: BF043E4A
	s_cbranch_scc1 label_1398                                  // 000000008CEC: BF850048
	s_cmp_eq_i32 s74, s62                                      // 000000008CF0: BF003E4A
	s_cbranch_scc1 label_137D                                  // 000000008CF4: BF85002B
	s_add_u32 s62, 8, s46                                      // 000000008CF8: 803E2E88
	s_cmp_lt_i32 s74, s62                                      // 000000008CFC: BF043E4A
	s_cbranch_scc1 label_13B8                                  // 000000008D00: BF850063
	s_cmp_eq_i32 s74, s62                                      // 000000008D04: BF003E4A
	s_cbranch_scc1 label_139D                                  // 000000008D08: BF850046
	s_add_u32 s62, 12, s46                                     // 000000008D0C: 803E2E8C
	s_cmp_lt_i32 s74, s62                                      // 000000008D10: BF043E4A
	s_cbranch_scc1 label_13D8                                  // 000000008D14: BF85007E
	s_cmp_eq_i32 s74, s62                                      // 000000008D18: BF003E4A
	s_cbranch_scc1 label_13BD                                  // 000000008D1C: BF850061
	s_branch label_13DD                                        // 000000008D20: BF820080

0000000000008d24 <label_135D>:
	v_cndmask_b32_e64 v24, v24, v125, s[60:61]                 // 000000008D24: D1000018 00F2FB18
	s_lshl_b32 s60, s60, 1                                     // 000000008D2C: 8E3C813C
	s_lshl_b32 s61, s61, 1                                     // 000000008D30: 8E3D813D
	s_and_b32 s60, 0xfffeffff, s60                             // 000000008D34: 863C3CFF FFFEFFFF
	s_and_b32 s61, 0xfffeffff, s61                             // 000000008D3C: 863D3DFF FFFEFFFF
	v_cndmask_b32_e64 v25, v25, v125, s[60:61]                 // 000000008D44: D1000019 00F2FB19
	s_lshl_b32 s60, s60, 1                                     // 000000008D4C: 8E3C813C
	s_lshl_b32 s61, s61, 1                                     // 000000008D50: 8E3D813D
	s_and_b32 s60, 0xfffeffff, s60                             // 000000008D54: 863C3CFF FFFEFFFF
	s_and_b32 s61, 0xfffeffff, s61                             // 000000008D5C: 863D3DFF FFFEFFFF
	v_cndmask_b32_e64 v26, v26, v125, s[60:61]                 // 000000008D64: D100001A 00F2FB1A
	s_lshl_b32 s60, s60, 1                                     // 000000008D6C: 8E3C813C
	s_lshl_b32 s61, s61, 1                                     // 000000008D70: 8E3D813D
	s_and_b32 s60, 0xfffeffff, s60                             // 000000008D74: 863C3CFF FFFEFFFF
	s_and_b32 s61, 0xfffeffff, s61                             // 000000008D7C: 863D3DFF FFFEFFFF
	v_cndmask_b32_e64 v27, v27, v125, s[60:61]                 // 000000008D84: D100001B 00F2FB1B
	s_branch label_1398                                        // 000000008D8C: BF820020

0000000000008d90 <label_1378>:
	v_mov_b32_e32 v24, v125                                    // 000000008D90: 7E30037D
	v_mov_b32_e32 v25, v125                                    // 000000008D94: 7E32037D
	v_mov_b32_e32 v26, v125                                    // 000000008D98: 7E34037D
	v_mov_b32_e32 v27, v125                                    // 000000008D9C: 7E36037D
	s_branch label_1398                                        // 000000008DA0: BF82001B

0000000000008da4 <label_137D>:
	v_cndmask_b32_e64 v28, v28, v125, s[60:61]                 // 000000008DA4: D100001C 00F2FB1C
	s_lshl_b32 s60, s60, 1                                     // 000000008DAC: 8E3C813C
	s_lshl_b32 s61, s61, 1                                     // 000000008DB0: 8E3D813D
	s_and_b32 s60, 0xfffeffff, s60                             // 000000008DB4: 863C3CFF FFFEFFFF
	s_and_b32 s61, 0xfffeffff, s61                             // 000000008DBC: 863D3DFF FFFEFFFF
	v_cndmask_b32_e64 v29, v29, v125, s[60:61]                 // 000000008DC4: D100001D 00F2FB1D
	s_lshl_b32 s60, s60, 1                                     // 000000008DCC: 8E3C813C
	s_lshl_b32 s61, s61, 1                                     // 000000008DD0: 8E3D813D
	s_and_b32 s60, 0xfffeffff, s60                             // 000000008DD4: 863C3CFF FFFEFFFF
	s_and_b32 s61, 0xfffeffff, s61                             // 000000008DDC: 863D3DFF FFFEFFFF
	v_cndmask_b32_e64 v30, v30, v125, s[60:61]                 // 000000008DE4: D100001E 00F2FB1E
	s_lshl_b32 s60, s60, 1                                     // 000000008DEC: 8E3C813C
	s_lshl_b32 s61, s61, 1                                     // 000000008DF0: 8E3D813D
	s_and_b32 s60, 0xfffeffff, s60                             // 000000008DF4: 863C3CFF FFFEFFFF
	s_and_b32 s61, 0xfffeffff, s61                             // 000000008DFC: 863D3DFF FFFEFFFF
	v_cndmask_b32_e64 v31, v31, v125, s[60:61]                 // 000000008E04: D100001F 00F2FB1F
	s_branch label_13B8                                        // 000000008E0C: BF820020

0000000000008e10 <label_1398>:
	v_mov_b32_e32 v28, v125                                    // 000000008E10: 7E38037D
	v_mov_b32_e32 v29, v125                                    // 000000008E14: 7E3A037D
	v_mov_b32_e32 v30, v125                                    // 000000008E18: 7E3C037D
	v_mov_b32_e32 v31, v125                                    // 000000008E1C: 7E3E037D
	s_branch label_13B8                                        // 000000008E20: BF82001B

0000000000008e24 <label_139D>:
	v_cndmask_b32_e64 v32, v32, v125, s[60:61]                 // 000000008E24: D1000020 00F2FB20
	s_lshl_b32 s60, s60, 1                                     // 000000008E2C: 8E3C813C
	s_lshl_b32 s61, s61, 1                                     // 000000008E30: 8E3D813D
	s_and_b32 s60, 0xfffeffff, s60                             // 000000008E34: 863C3CFF FFFEFFFF
	s_and_b32 s61, 0xfffeffff, s61                             // 000000008E3C: 863D3DFF FFFEFFFF
	v_cndmask_b32_e64 v33, v33, v125, s[60:61]                 // 000000008E44: D1000021 00F2FB21
	s_lshl_b32 s60, s60, 1                                     // 000000008E4C: 8E3C813C
	s_lshl_b32 s61, s61, 1                                     // 000000008E50: 8E3D813D
	s_and_b32 s60, 0xfffeffff, s60                             // 000000008E54: 863C3CFF FFFEFFFF
	s_and_b32 s61, 0xfffeffff, s61                             // 000000008E5C: 863D3DFF FFFEFFFF
	v_cndmask_b32_e64 v34, v34, v125, s[60:61]                 // 000000008E64: D1000022 00F2FB22
	s_lshl_b32 s60, s60, 1                                     // 000000008E6C: 8E3C813C
	s_lshl_b32 s61, s61, 1                                     // 000000008E70: 8E3D813D
	s_and_b32 s60, 0xfffeffff, s60                             // 000000008E74: 863C3CFF FFFEFFFF
	s_and_b32 s61, 0xfffeffff, s61                             // 000000008E7C: 863D3DFF FFFEFFFF
	v_cndmask_b32_e64 v35, v35, v125, s[60:61]                 // 000000008E84: D1000023 00F2FB23
	s_branch label_13D8                                        // 000000008E8C: BF820020

0000000000008e90 <label_13B8>:
	v_mov_b32_e32 v32, v125                                    // 000000008E90: 7E40037D
	v_mov_b32_e32 v33, v125                                    // 000000008E94: 7E42037D
	v_mov_b32_e32 v34, v125                                    // 000000008E98: 7E44037D
	v_mov_b32_e32 v35, v125                                    // 000000008E9C: 7E46037D
	s_branch label_13D8                                        // 000000008EA0: BF82001B

0000000000008ea4 <label_13BD>:
	v_cndmask_b32_e64 v36, v36, v125, s[60:61]                 // 000000008EA4: D1000024 00F2FB24
	s_lshl_b32 s60, s60, 1                                     // 000000008EAC: 8E3C813C
	s_lshl_b32 s61, s61, 1                                     // 000000008EB0: 8E3D813D
	s_and_b32 s60, 0xfffeffff, s60                             // 000000008EB4: 863C3CFF FFFEFFFF
	s_and_b32 s61, 0xfffeffff, s61                             // 000000008EBC: 863D3DFF FFFEFFFF
	v_cndmask_b32_e64 v37, v37, v125, s[60:61]                 // 000000008EC4: D1000025 00F2FB25
	s_lshl_b32 s60, s60, 1                                     // 000000008ECC: 8E3C813C
	s_lshl_b32 s61, s61, 1                                     // 000000008ED0: 8E3D813D
	s_and_b32 s60, 0xfffeffff, s60                             // 000000008ED4: 863C3CFF FFFEFFFF
	s_and_b32 s61, 0xfffeffff, s61                             // 000000008EDC: 863D3DFF FFFEFFFF
	v_cndmask_b32_e64 v38, v38, v125, s[60:61]                 // 000000008EE4: D1000026 00F2FB26
	s_lshl_b32 s60, s60, 1                                     // 000000008EEC: 8E3C813C
	s_lshl_b32 s61, s61, 1                                     // 000000008EF0: 8E3D813D
	s_and_b32 s60, 0xfffeffff, s60                             // 000000008EF4: 863C3CFF FFFEFFFF
	s_and_b32 s61, 0xfffeffff, s61                             // 000000008EFC: 863D3DFF FFFEFFFF
	v_cndmask_b32_e64 v39, v39, v125, s[60:61]                 // 000000008F04: D1000027 00F2FB27
	s_branch label_13DD                                        // 000000008F0C: BF820005

0000000000008f10 <label_13D8>:
	v_mov_b32_e32 v36, v125                                    // 000000008F10: 7E48037D
	v_mov_b32_e32 v37, v125                                    // 000000008F14: 7E4A037D
	v_mov_b32_e32 v38, v125                                    // 000000008F18: 7E4C037D
	v_mov_b32_e32 v39, v125                                    // 000000008F1C: 7E4E037D
	s_branch label_13DD                                        // 000000008F20: BF820000

0000000000008f24 <label_13DD>:
	s_cmp_lt_i32 s99, 0x100                                    // 000000008F24: BF04FF63 00000100
	s_cbranch_scc0 label_144E                                  // 000000008F2C: BF840069
	s_cmp_le_i32 s99, 64                                       // 000000008F30: BF05C063
	s_cbranch_scc1 label_13EC                                  // 000000008F34: BF85000A
	s_cmp_le_i32 s99, 0x80                                     // 000000008F38: BF05FF63 00000080
	s_cbranch_scc1 label_1404                                  // 000000008F40: BF85001A
	s_cmp_lt_i32 s99, 0xc0                                     // 000000008F44: BF04FF63 000000C0
	s_cbranch_scc1 label_141C                                  // 000000008F4C: BF85002F
	s_cmp_lt_i32 s99, 0x100                                    // 000000008F50: BF04FF63 00000100
	s_cbranch_scc1 label_1435                                  // 000000008F58: BF850045
	s_branch label_144E                                        // 000000008F5C: BF82005D

0000000000008f60 <label_13EC>:
	s_mov_b32 s60, 0                                           // 000000008F60: BEBC0080
	v_and_b32_e32 v20, 15, v0                                  // 000000008F64: 2628008F
	v_add_u32_e64 v20, v20, s60                                // 000000008F68: D1340014 00007914
	v_mul_i32_i24_e64 v21, s46, 16                             // 000000008F70: D1060015 0001202E
	v_add_u32_e32 v20, v20, v21                                // 000000008F78: 68282B14
	v_cmp_lt_u32_e64 s[60:61], v20, s99                        // 000000008F7C: D0C9003C 0000C714
	s_nop 1                                                    // 000000008F84: BF800001
	v_cndmask_b32_e64 v24, v125, v24, s[60:61]                 // 000000008F88: D1000018 00F2317D
	v_cndmask_b32_e64 v25, v125, v25, s[60:61]                 // 000000008F90: D1000019 00F2337D
	v_cndmask_b32_e64 v26, v125, v26, s[60:61]                 // 000000008F98: D100001A 00F2357D
	v_cndmask_b32_e64 v27, v125, v27, s[60:61]                 // 000000008FA0: D100001B 00F2377D
	s_branch label_1417                                        // 000000008FA8: BF820013

0000000000008fac <label_1404>:
	s_mov_b32 s60, 64                                          // 000000008FAC: BEBC00C0
	v_and_b32_e32 v20, 15, v0                                  // 000000008FB0: 2628008F
	v_add_u32_e64 v20, v20, s60                                // 000000008FB4: D1340014 00007914
	v_mul_i32_i24_e64 v21, s46, 16                             // 000000008FBC: D1060015 0001202E
	v_add_u32_e32 v20, v20, v21                                // 000000008FC4: 68282B14
	v_cmp_lt_u32_e64 s[60:61], v20, s99                        // 000000008FC8: D0C9003C 0000C714
	s_nop 1                                                    // 000000008FD0: BF800001
	v_cndmask_b32_e64 v28, v125, v28, s[60:61]                 // 000000008FD4: D100001C 00F2397D
	v_cndmask_b32_e64 v29, v125, v29, s[60:61]                 // 000000008FDC: D100001D 00F23B7D
	v_cndmask_b32_e64 v30, v125, v30, s[60:61]                 // 000000008FE4: D100001E 00F23D7D
	v_cndmask_b32_e64 v31, v125, v31, s[60:61]                 // 000000008FEC: D100001F 00F23F7D
	s_branch label_1430                                        // 000000008FF4: BF820019

0000000000008ff8 <label_1417>:
	v_mov_b32_e32 v28, v125                                    // 000000008FF8: 7E38037D
	v_mov_b32_e32 v29, v125                                    // 000000008FFC: 7E3A037D
	v_mov_b32_e32 v30, v125                                    // 000000009000: 7E3C037D
	v_mov_b32_e32 v31, v125                                    // 000000009004: 7E3E037D
	s_branch label_1430                                        // 000000009008: BF820014

000000000000900c <label_141C>:
	s_mov_b32 s60, 0x80                                        // 00000000900C: BEBC00FF 00000080
	v_and_b32_e32 v20, 15, v0                                  // 000000009014: 2628008F
	v_add_u32_e64 v20, v20, s60                                // 000000009018: D1340014 00007914
	v_mul_i32_i24_e64 v21, s46, 16                             // 000000009020: D1060015 0001202E
	v_add_u32_e32 v20, v20, v21                                // 000000009028: 68282B14
	v_cmp_lt_u32_e64 s[60:61], v20, s99                        // 00000000902C: D0C9003C 0000C714
	s_nop 1                                                    // 000000009034: BF800001
	v_cndmask_b32_e64 v32, v125, v32, s[60:61]                 // 000000009038: D1000020 00F2417D
	v_cndmask_b32_e64 v33, v125, v33, s[60:61]                 // 000000009040: D1000021 00F2437D
	v_cndmask_b32_e64 v34, v125, v34, s[60:61]                 // 000000009048: D1000022 00F2457D
	v_cndmask_b32_e64 v35, v125, v35, s[60:61]                 // 000000009050: D1000023 00F2477D
	s_branch label_1449                                        // 000000009058: BF820019

000000000000905c <label_1430>:
	v_mov_b32_e32 v32, v125                                    // 00000000905C: 7E40037D
	v_mov_b32_e32 v33, v125                                    // 000000009060: 7E42037D
	v_mov_b32_e32 v34, v125                                    // 000000009064: 7E44037D
	v_mov_b32_e32 v35, v125                                    // 000000009068: 7E46037D
	s_branch label_1449                                        // 00000000906C: BF820014

0000000000009070 <label_1435>:
	s_mov_b32 s60, 0xc0                                        // 000000009070: BEBC00FF 000000C0
	v_and_b32_e32 v20, 15, v0                                  // 000000009078: 2628008F
	v_add_u32_e64 v20, v20, s60                                // 00000000907C: D1340014 00007914
	v_mul_i32_i24_e64 v21, s46, 16                             // 000000009084: D1060015 0001202E
	v_add_u32_e32 v20, v20, v21                                // 00000000908C: 68282B14
	v_cmp_lt_u32_e64 s[60:61], v20, s99                        // 000000009090: D0C9003C 0000C714
	s_nop 1                                                    // 000000009098: BF800001
	v_cndmask_b32_e64 v36, v125, v36, s[60:61]                 // 00000000909C: D1000024 00F2497D
	v_cndmask_b32_e64 v37, v125, v37, s[60:61]                 // 0000000090A4: D1000025 00F24B7D
	v_cndmask_b32_e64 v38, v125, v38, s[60:61]                 // 0000000090AC: D1000026 00F24D7D
	v_cndmask_b32_e64 v39, v125, v39, s[60:61]                 // 0000000090B4: D1000027 00F24F7D
	s_branch label_144E                                        // 0000000090BC: BF820005

00000000000090c0 <label_1449>:
	v_mov_b32_e32 v36, v125                                    // 0000000090C0: 7E48037D
	v_mov_b32_e32 v37, v125                                    // 0000000090C4: 7E4A037D
	v_mov_b32_e32 v38, v125                                    // 0000000090C8: 7E4C037D
	v_mov_b32_e32 v39, v125                                    // 0000000090CC: 7E4E037D
	s_branch label_144E                                        // 0000000090D0: BF820000

00000000000090d4 <label_144E>:
	s_addk_i32 s74, 0x1                                        // 0000000090D4: B74A0001
	s_waitcnt lgkmcnt(8)                                       // 0000000090D8: BF8CC87F
	v_mfma_f32_16x16x32_f16 v[56:59], v[72:75], a[48:51], 0    // 0000000090DC: D3D40038 12026148
	v_exp_f32_e32 v24, v24                                     // 0000000090E4: 7E304118
	v_exp_f32_e32 v25, v25                                     // 0000000090E8: 7E324119
	v_mfma_f32_16x16x32_f16 v[56:59], v[76:79], a[52:55], v[56:59]// 0000000090EC: D3D40038 14E2694C
	v_exp_f32_e32 v26, v26                                     // 0000000090F4: 7E34411A
	v_exp_f32_e32 v27, v27                                     // 0000000090F8: 7E36411B
	v_mfma_f32_16x16x32_f16 v[56:59], v[80:83], a[56:59], v[56:59]// 0000000090FC: D3D40038 14E27150
	v_fma_f32 v36, v36, s57, -v104                             // 000000009104: D1CB0024 85A07324
	v_fma_f32 v37, v37, s57, -v105                             // 00000000910C: D1CB0025 85A47325
	v_exp_f32_e32 v28, v28                                     // 000000009114: 7E38411C
	v_exp_f32_e32 v29, v29                                     // 000000009118: 7E3A411D
	v_mfma_f32_16x16x32_f16 v[56:59], v[84:87], a[60:63], v[56:59]// 00000000911C: D3D40038 14E27954
	ds_read_b64_tr_b16 a[112:113], v10                         // 000000009124: DBC60000 7000000A
	ds_read_b64_tr_b16 a[114:115], v10 offset:256              // 00000000912C: DBC60100 7200000A
	v_mfma_f32_16x16x32_f16 v[60:63], v[72:75], a[64:67], 0    // 000000009134: D3D4003C 12028148
	v_fma_f32 v38, v38, s57, -v106                             // 00000000913C: D1CB0026 85A87326
	v_fma_f32 v39, v39, s57, -v107                             // 000000009144: D1CB0027 85AC7327
	v_exp_f32_e32 v30, v30                                     // 00000000914C: 7E3C411E
	v_exp_f32_e32 v31, v31                                     // 000000009150: 7E3E411F
	v_mfma_f32_16x16x32_f16 v[60:63], v[76:79], a[68:71], v[60:63]// 000000009154: D3D4003C 14F2894C
	ds_read_b64_tr_b16 a[116:117], v10 offset:1024             // 00000000915C: DBC60400 7400000A
	ds_read_b64_tr_b16 a[118:119], v10 offset:1280             // 000000009164: DBC60500 7600000A
	v_mfma_f32_16x16x32_f16 v[60:63], v[80:83], a[72:75], v[60:63]// 00000000916C: D3D4003C 14F29150
	v_exp_f32_e32 v32, v32                                     // 000000009174: 7E404120
	v_exp_f32_e32 v33, v33                                     // 000000009178: 7E424121
	v_mfma_f32_16x16x32_f16 v[60:63], v[84:87], a[76:79], v[60:63]// 00000000917C: D3D4003C 14F29954
	v_cvt_pk_f16_f32 v116, v24, v25                            // 000000009184: D2670074 00023318
	v_cvt_pk_f16_f32 v117, v26, v27                            // 00000000918C: D2670075 0002371A
	v_exp_f32_e32 v34, v34                                     // 000000009194: 7E444122
	v_mfma_f32_16x16x32_f16 v[64:67], v[72:75], a[80:83], 0    // 000000009198: D3D40040 1202A148
	v_exp_f32_e32 v35, v35                                     // 0000000091A0: 7E464123
	v_exp_f32_e32 v36, v36                                     // 0000000091A4: 7E484124
	v_mfma_f32_16x16x32_f16 v[64:67], v[76:79], a[84:87], v[64:67]// 0000000091A8: D3D40040 1502A94C
	v_cvt_pk_f16_f32 v118, v28, v29                            // 0000000091B0: D2670076 00023B1C
	v_cvt_pk_f16_f32 v119, v30, v31                            // 0000000091B8: D2670077 00023F1E
	v_exp_f32_e32 v37, v37                                     // 0000000091C0: 7E4A4125
	v_mfma_f32_16x16x32_f16 v[64:67], v[80:83], a[88:91], v[64:67]// 0000000091C4: D3D40040 1502B150
	v_exp_f32_e32 v38, v38                                     // 0000000091CC: 7E4C4126
	v_exp_f32_e32 v39, v39                                     // 0000000091D0: 7E4E4127
	v_permlane16_swap_b32_e32 v116, v118                       // 0000000091D4: 7EE8B376
	v_mfma_f32_16x16x32_f16 v[64:67], v[84:87], a[92:95], v[64:67]// 0000000091D8: D3D40040 1502B954
	ds_read_b64_tr_b16 a[120:121], v10 offset:2048             // 0000000091E0: DBC60800 7800000A
	ds_read_b64_tr_b16 a[122:123], v10 offset:2304             // 0000000091E8: DBC60900 7A00000A
	v_mfma_f32_16x16x32_f16 v[68:71], v[72:75], a[96:99], 0    // 0000000091F0: D3D40044 1202C148
	v_cvt_pk_f16_f32 v120, v32, v33                            // 0000000091F8: D2670078 00024320
	v_cvt_pk_f16_f32 v121, v34, v35                            // 000000009200: D2670079 00024722
	v_cvt_pk_f16_f32 v122, v36, v37                            // 000000009208: D267007A 00024B24
	v_cvt_pk_f16_f32 v123, v38, v39                            // 000000009210: D267007B 00024F26
	v_permlane16_swap_b32_e32 v117, v119                       // 000000009218: 7EEAB377
	v_mfma_f32_16x16x32_f16 v[68:71], v[76:79], a[100:103], v[68:71]// 00000000921C: D3D40044 1512C94C
	ds_read_b64_tr_b16 a[124:125], v10 offset:3072             // 000000009224: DBC60C00 7C00000A
	ds_read_b64_tr_b16 a[126:127], v10 offset:3328             // 00000000922C: DBC60D00 7E00000A
	v_mfma_f32_16x16x32_f16 v[68:71], v[80:83], a[104:107], v[68:71]// 000000009234: D3D40044 1512D150
	v_permlane16_swap_b32_e32 v120, v122                       // 00000000923C: 7EF0B37A
	v_mfma_f32_16x16x32_f16 v[68:71], v[84:87], a[108:111], v[68:71]// 000000009240: D3D40044 1512D954
	v_permlane16_swap_b32_e32 v121, v123                       // 000000009248: 7EF2B37B
	s_waitcnt lgkmcnt(8)                                       // 00000000924C: BF8CC87F
	v_mfma_f32_32x32x16_f16 v[126:141], v[88:91], v[116:119], v[126:141]// 000000009250: D3D5007E 05FAE958
	v_subrev_f32_dpp v56, v124, v56 quad_perm:[0,0,0,0] row_mask:0xf bank_mask:0xf// 000000009258: 067070FA FF00007C
	v_subrev_f32_dpp v57, v124, v57 quad_perm:[1,1,1,1] row_mask:0xf bank_mask:0xf// 000000009260: 067272FA FF00557C
	v_subrev_f32_dpp v58, v124, v58 quad_perm:[2,2,2,2] row_mask:0xf bank_mask:0xf// 000000009268: 067474FA FF00AA7C
	v_subrev_f32_dpp v59, v124, v59 quad_perm:[3,3,3,3] row_mask:0xf bank_mask:0xf// 000000009270: 067676FA FF00FF7C
	v_subrev_f32_dpp v60, v124, v60 quad_perm:[0,0,0,0] row_mask:0xf bank_mask:0xf// 000000009278: 067878FA FF00007C
	v_subrev_f32_dpp v61, v124, v61 quad_perm:[1,1,1,1] row_mask:0xf bank_mask:0xf// 000000009280: 067A7AFA FF00557C
	v_subrev_f32_dpp v62, v124, v62 quad_perm:[2,2,2,2] row_mask:0xf bank_mask:0xf// 000000009288: 067C7CFA FF00AA7C
	v_subrev_f32_dpp v63, v124, v63 quad_perm:[3,3,3,3] row_mask:0xf bank_mask:0xf// 000000009290: 067E7EFA FF00FF7C
	v_mul_f32_e32 v56, v24, v56                                // 000000009298: 0A707118
	v_mul_f32_e32 v57, v25, v57                                // 00000000929C: 0A727319
	v_mfma_f32_32x32x16_f16 v[142:157], v[92:95], v[116:119], v[142:157]// 0000000092A0: D3D5008E 063AE95C
	ds_read_b64_tr_b16 a[0:1], v15                             // 0000000092A8: DBC60000 0000000F
	ds_read_b64_tr_b16 a[2:3], v15 offset:256                  // 0000000092B0: DBC60100 0200000F
	ds_read_b64_tr_b16 a[4:5], v16                             // 0000000092B8: DBC60000 04000010
	ds_read_b64_tr_b16 a[6:7], v16 offset:256                  // 0000000092C0: DBC60100 06000010
	buffer_atomic_add_f32 v110, v6, s[32:35], 0 offen          // 0000000092C8: E1341000 80086E06
	v_mfma_f32_32x32x16_f16 v[158:173], v[96:99], v[116:119], v[158:173]// 0000000092D0: D3D5009E 067AE960
	v_mul_f32_e32 v58, v26, v58                                // 0000000092D8: 0A74751A
	v_mul_f32_e32 v59, v27, v59                                // 0000000092DC: 0A76771B
	v_mul_f32_e32 v60, v28, v60                                // 0000000092E0: 0A78791C
	v_mul_f32_e32 v61, v29, v61                                // 0000000092E4: 0A7A7B1D
	v_mul_f32_e32 v62, v30, v62                                // 0000000092E8: 0A7C7D1E
	v_mul_f32_e32 v63, v31, v63                                // 0000000092EC: 0A7E7F1F
	v_cvt_pk_f16_f32 v56, v56, v57                             // 0000000092F0: D2670038 00027338
	v_cvt_pk_f16_f32 v57, v58, v59                             // 0000000092F8: D2670039 0002773A
	v_cvt_pk_f16_f32 v58, v60, v61                             // 000000009300: D267003A 00027B3C
	v_cvt_pk_f16_f32 v59, v62, v63                             // 000000009308: D267003B 00027F3E
	v_subrev_f32_dpp v64, v124, v64 quad_perm:[0,0,0,0] row_mask:0xf bank_mask:0xf// 000000009310: 068080FA FF00007C
	v_subrev_f32_dpp v65, v124, v65 quad_perm:[1,1,1,1] row_mask:0xf bank_mask:0xf// 000000009318: 068282FA FF00557C
	v_subrev_f32_dpp v66, v124, v66 quad_perm:[2,2,2,2] row_mask:0xf bank_mask:0xf// 000000009320: 068484FA FF00AA7C
	v_subrev_f32_dpp v67, v124, v67 quad_perm:[3,3,3,3] row_mask:0xf bank_mask:0xf// 000000009328: 068686FA FF00FF7C
	v_mfma_f32_32x32x16_f16 v[174:189], v[100:103], v[116:119], v[174:189]// 000000009330: D3D500AE 06BAE964
	ds_read_b64_tr_b16 a[8:9], v15 offset:8192                 // 000000009338: DBC62000 0800000F
	ds_read_b64_tr_b16 a[10:11], v15 offset:8448               // 000000009340: DBC62100 0A00000F
	ds_read_b64_tr_b16 a[12:13], v16 offset:8192               // 000000009348: DBC62000 0C000010
	ds_read_b64_tr_b16 a[14:15], v16 offset:8448               // 000000009350: DBC62100 0E000010
	v_mfma_f32_32x32x16_f16 v[190:205], v[88:91], v[120:123], v[190:205]// 000000009358: D3D500BE 06FAF158
	v_subrev_f32_dpp v68, v124, v68 quad_perm:[0,0,0,0] row_mask:0xf bank_mask:0xf// 000000009360: 068888FA FF00007C
	v_subrev_f32_dpp v69, v124, v69 quad_perm:[1,1,1,1] row_mask:0xf bank_mask:0xf// 000000009368: 068A8AFA FF00557C
	v_subrev_f32_dpp v70, v124, v70 quad_perm:[2,2,2,2] row_mask:0xf bank_mask:0xf// 000000009370: 068C8CFA FF00AA7C
	v_subrev_f32_dpp v71, v124, v71 quad_perm:[3,3,3,3] row_mask:0xf bank_mask:0xf// 000000009378: 068E8EFA FF00FF7C
	v_mul_f32_e32 v64, v32, v64                                // 000000009380: 0A808120
	v_mul_f32_e32 v65, v33, v65                                // 000000009384: 0A828321
	v_mul_f32_e32 v66, v34, v66                                // 000000009388: 0A848522
	v_mul_f32_e32 v67, v35, v67                                // 00000000938C: 0A868723
	v_mul_f32_e32 v68, v36, v68                                // 000000009390: 0A888924
	v_mul_f32_e32 v69, v37, v69                                // 000000009394: 0A8A8B25
	v_mul_f32_e32 v70, v38, v70                                // 000000009398: 0A8C8D26
	v_mul_f32_e32 v71, v39, v71                                // 00000000939C: 0A8E8F27
	v_cvt_pk_f16_f32 v60, v64, v65                             // 0000000093A0: D267003C 00028340
	v_cvt_pk_f16_f32 v61, v66, v67                             // 0000000093A8: D267003D 00028742
	v_cvt_pk_f16_f32 v62, v68, v69                             // 0000000093B0: D267003E 00028B44
	v_cvt_pk_f16_f32 v63, v70, v71                             // 0000000093B8: D267003F 00028F46
	v_mfma_f32_32x32x16_f16 v[206:221], v[92:95], v[120:123], v[206:221]// 0000000093C0: D3D500CE 073AF15C
	ds_read_b64_tr_b16 a[16:17], v15 offset:16384              // 0000000093C8: DBC64000 1000000F
	ds_read_b64_tr_b16 a[18:19], v15 offset:16640              // 0000000093D0: DBC64100 1200000F
	ds_write_b64 v12, v[56:57] offset:32768                    // 0000000093D8: D89A8000 0000380C
	ds_write_b64 v12, v[58:59] offset:35072                    // 0000000093E0: D89A8900 00003A0C
	buffer_atomic_add_f32 v111, v7, s[32:35], 0 offen          // 0000000093E8: E1341000 80086F07
	v_mfma_f32_32x32x16_f16 v[222:237], v[96:99], v[120:123], v[222:237]// 0000000093F0: D3D500DE 077AF160
	v_permlane16_swap_b32_e32 v56, v58                         // 0000000093F8: 7E70B33A
	v_permlane16_swap_b32_e32 v57, v59                         // 0000000093FC: 7E72B33B
	s_nop 1                                                    // 000000009400: BF800001
	v_mfma_f32_32x32x16_f16 v[238:253], v[100:103], v[120:123], v[238:253]// 000000009404: D3D500EE 07BAF164
	ds_read_b32 v104, v13 offset:42496                         // 00000000940C: D86CA600 6800000D
	ds_read_b32 v124, v13 offset:42752                         // 000000009414: D86CA700 7C00000D
	ds_write_b64 v12, v[60:61] offset:37376                    // 00000000941C: D89A9200 00003C0C
	ds_write_b64 v12, v[62:63] offset:39680                    // 000000009424: D89A9B00 00003E0C
	s_waitcnt lgkmcnt(12)                                      // 00000000942C: BF8CCC7F
	v_mfma_f32_32x32x16_f16 a[128:143], a[112:115], v[56:59], a[128:143]// 000000009430: D3D58080 0E027170
	v_permlane16_swap_b32_e32 v60, v62                         // 000000009438: 7E78B33E
	buffer_atomic_add_f32 v112, v4, s[32:35], 0 offen offset:64// 00000000943C: E1341040 80087004
	v_mfma_f32_32x32x16_f16 a[144:159], a[116:119], v[56:59], a[144:159]// 000000009444: D3D58090 0E427174
	ds_read_b64_tr_b16 a[20:21], v16 offset:16384              // 00000000944C: DBC64000 14000010
	ds_read_b64_tr_b16 a[22:23], v16 offset:16640              // 000000009454: DBC64100 16000010
	ds_read_b64_tr_b16 a[24:25], v15 offset:24576              // 00000000945C: DBC66000 1800000F
	ds_read_b64_tr_b16 a[26:27], v15 offset:24832              // 000000009464: DBC66100 1A00000F
	ds_read_b64_tr_b16 a[28:29], v16 offset:24576              // 00000000946C: DBC66000 1C000010
	ds_read_b64_tr_b16 a[30:31], v16 offset:24832              // 000000009474: DBC66100 1E000010
	ds_read_b64_tr_b16 a[32:33], v15 offset:32768              // 00000000947C: DBC68000 2000000F
	ds_read_b64_tr_b16 a[34:35], v15 offset:33024              // 000000009484: DBC68100 2200000F
	s_waitcnt lgkmcnt(8)                                       // 00000000948C: BF8CC87F
	s_barrier                                                  // 000000009490: BF8A0000
	v_mfma_f32_32x32x16_f16 a[160:175], a[120:123], v[56:59], a[160:175]// 000000009494: D3D580A0 0E827178
	v_permlane16_swap_b32_e32 v61, v63                         // 00000000949C: 7E7AB33F
	v_mul_f32_e32 v104, s48, v104                              // 0000000094A0: 0AD0D030
	buffer_atomic_add_f32 v113, v5, s[32:35], 0 offen offset:64// 0000000094A4: E1341040 80087105
	v_mfma_f32_32x32x16_f16 a[176:191], a[124:127], v[56:59], a[176:191]// 0000000094AC: D3D580B0 0EC2717C
	ds_read_b64_tr_b16 v[24:25], v11 offset:32768              // 0000000094B4: D9C68000 1800000B
	ds_read_b64_tr_b16 v[26:27], v11 offset:32800              // 0000000094BC: D9C68020 1A00000B
	ds_read_b64_tr_b16 v[28:29], v11 offset:33920              // 0000000094C4: D9C68480 1C00000B
	ds_read_b64_tr_b16 v[30:31], v11 offset:33952              // 0000000094CC: D9C684A0 1E00000B
	ds_read_b64_tr_b16 v[32:33], v11 offset:35072              // 0000000094D4: D9C68900 2000000B
	ds_read_b64_tr_b16 v[34:35], v11 offset:35104              // 0000000094DC: D9C68920 2200000B
	ds_read_b64_tr_b16 v[36:37], v11 offset:36224              // 0000000094E4: D9C68D80 2400000B
	ds_read_b64_tr_b16 v[38:39], v11 offset:36256              // 0000000094EC: D9C68DA0 2600000B
	v_mfma_f32_32x32x16_f16 a[192:207], a[112:115], v[60:63], a[192:207]// 0000000094F4: D3D580C0 0F027970
	v_mov_b32_dpp v107, v104 quad_perm:[3,3,3,3] row_mask:0xf bank_mask:0xf// 0000000094FC: 7ED602FA FF00FF68
	v_mov_b32_dpp v106, v104 quad_perm:[2,2,2,2] row_mask:0xf bank_mask:0xf// 000000009504: 7ED402FA FF00AA68
	buffer_atomic_add_f32 v114, v6, s[32:35], 0 offen offset:64// 00000000950C: E1341040 80087206
	v_mfma_f32_32x32x16_f16 a[208:223], a[116:119], v[60:63], a[208:223]// 000000009514: D3D580D0 0F427974
	ds_read_b64_tr_b16 v[40:41], v11 offset:37376              // 00000000951C: D9C69200 2800000B
	ds_read_b64_tr_b16 v[42:43], v11 offset:37408              // 000000009524: D9C69220 2A00000B
	ds_read_b64_tr_b16 v[44:45], v11 offset:38528              // 00000000952C: D9C69680 2C00000B
	ds_read_b64_tr_b16 v[46:47], v11 offset:38560              // 000000009534: D9C696A0 2E00000B
	ds_read_b64_tr_b16 a[36:37], v16 offset:32768              // 00000000953C: DBC68000 24000010
	ds_read_b64_tr_b16 a[38:39], v16 offset:33024              // 000000009544: DBC68100 26000010
	ds_read_b64_tr_b16 a[40:41], v15 offset:40960              // 00000000954C: DBC6A000 2800000F
	ds_read_b64_tr_b16 a[42:43], v15 offset:41216              // 000000009554: DBC6A100 2A00000F
	v_mfma_f32_32x32x16_f16 a[224:239], a[120:123], v[60:63], a[224:239]// 00000000955C: D3D580E0 0F827978
	v_mov_b32_dpp v105, v104 quad_perm:[1,1,1,1] row_mask:0xf bank_mask:0xf// 000000009564: 7ED202FA FF005568
	v_mov_b32_dpp v104, v104 quad_perm:[0,0,0,0] row_mask:0xf bank_mask:0xf// 00000000956C: 7ED002FA FF000068
	buffer_atomic_add_f32 v115, v7, s[32:35], 0 offen offset:64// 000000009574: E1341040 80087307
	v_mfma_f32_32x32x16_f16 a[240:255], a[124:127], v[60:63], a[240:255]// 00000000957C: D3D580F0 0FC2797C
	ds_read_b64_tr_b16 v[48:49], v11 offset:39680              // 000000009584: D9C69B00 3000000B
	ds_read_b64_tr_b16 v[50:51], v11 offset:39712              // 00000000958C: D9C69B20 3200000B
	ds_read_b64_tr_b16 v[52:53], v11 offset:40832              // 000000009594: D9C69F80 3400000B
	ds_read_b64_tr_b16 v[54:55], v11 offset:40864              // 00000000959C: D9C69FA0 3600000B
	ds_read_b64_tr_b16 a[44:45], v16 offset:40960              // 0000000095A4: DBC6A000 2C000010
	ds_read_b64_tr_b16 a[46:47], v16 offset:41216              // 0000000095AC: DBC6A100 2E000010
	s_waitcnt vmcnt(8) lgkmcnt(6)                              // 0000000095B4: BF8C0678
	s_barrier                                                  // 0000000095B8: BF8A0000
	v_mfma_f32_16x16x32_f16 v[108:111], v[24:27], a[0:3], 0    // 0000000095BC: D3D4006C 12020118
	s_mov_b32 m0, s85                                          // 0000000095C4: BEFC0055
	buffer_load_dwordx4 v1, s[8:11], 0 idxen lds               // 0000000095C8: E05D2000 80020001
	v_mfma_f32_16x16x32_f16 v[108:111], v[28:31], a[8:11], v[108:111]// 0000000095D0: D3D4006C 15B2111C
	ds_read_b64_tr_b16 v[56:57], v15 offset:49152              // 0000000095D8: D9C6C000 3800000F
	ds_read_b64_tr_b16 v[58:59], v15 offset:49408              // 0000000095E0: D9C6C100 3A00000F
	ds_read_b64_tr_b16 v[60:61], v16 offset:49152              // 0000000095E8: D9C6C000 3C000010
	ds_read_b64_tr_b16 v[62:63], v16 offset:49408              // 0000000095F0: D9C6C100 3E000010
	v_mfma_f32_16x16x32_f16 v[108:111], v[32:35], a[16:19], v[108:111]// 0000000095F8: D3D4006C 15B22120
	s_mov_b32 m0, s89                                          // 000000009600: BEFC0059
	buffer_load_dwordx4 v254, s[20:23], 0 idxen lds            // 000000009604: E05D2000 800500FE
	v_mfma_f32_16x16x32_f16 v[108:111], v[36:39], a[24:27], v[108:111]// 00000000960C: D3D4006C 15B23124
	ds_read_b64_tr_b16 v[64:65], v15 offset:57344              // 000000009614: D9C6E000 4000000F
	ds_read_b64_tr_b16 v[66:67], v15 offset:57600              // 00000000961C: D9C6E100 4200000F
	ds_read_b64_tr_b16 v[68:69], v16 offset:57344              // 000000009624: D9C6E000 44000010
	ds_read_b64_tr_b16 v[70:71], v16 offset:57600              // 00000000962C: D9C6E100 46000010
	v_mfma_f32_16x16x32_f16 v[108:111], v[40:43], a[32:35], v[108:111]// 000000009634: D3D4006C 15B24128
	s_mov_b32 m0, s81                                          // 00000000963C: BEFC0051
	buffer_load_dword v8, s[24:27], 0 idxen lds                // 000000009640: E0512000 80060008
	v_mfma_f32_16x16x32_f16 v[108:111], v[44:47], a[40:43], v[108:111]// 000000009648: D3D4006C 15B2512C
	ds_read_b128 a[112:115], v9 offset:4096                    // 000000009650: DBFE1000 70000009
	ds_read_b128 a[116:119], v9 offset:5120                    // 000000009658: DBFE1400 74000009
	s_waitcnt lgkmcnt(4)                                       // 000000009660: BF8CC47F
	s_barrier                                                  // 000000009664: BF8A0000
	v_mfma_f32_16x16x32_f16 v[108:111], v[48:51], v[56:59], v[108:111]// 000000009668: D3D4006C 05B27130
	s_add_u32 s60, 64, s59                                     // 000000009670: 803C3BC0
	s_cmp_lt_u32 s60, s58                                      // 000000009674: BF0A3A3C
	s_cselect_b32 s68, s68, 0                                  // 000000009678: 85448044
	s_cselect_b32 s98, s98, 0                                  // 00000000967C: 85628062
	s_cselect_b32 s69, s69, 0                                  // 000000009680: 85458045
	v_mfma_f32_16x16x32_f16 v[108:111], v[52:55], v[64:67], v[108:111]// 000000009684: D3D4006C 05B28134
	ds_read_b128 a[120:123], v9 offset:6144                    // 00000000968C: DBFE1800 78000009
	ds_read_b128 a[124:127], v9 offset:7168                    // 000000009694: DBFE1C00 7C000009
	v_mfma_f32_16x16x32_f16 v[112:115], v[24:27], a[4:7], 0    // 00000000969C: D3D40070 12020918
	v_add_u32_e32 v1, s68, v1                                  // 0000000096A4: 68020244
	v_add_u32_e32 v254, s98, v254                              // 0000000096A8: 69FDFC62
	v_add_u32_e32 v8, s69, v8                                  // 0000000096AC: 68101045
	v_mfma_f32_16x16x32_f16 v[112:115], v[28:31], a[12:15], v[112:115]// 0000000096B0: D3D40070 15C2191C
	ds_read_b128 a[0:3], v14                                   // 0000000096B8: DBFE0000 0000000E
	ds_read_b128 a[4:7], v14 offset:1024                       // 0000000096C0: DBFE0400 0400000E
	v_mfma_f32_16x16x32_f16 v[112:115], v[32:35], a[20:23], v[112:115]// 0000000096C8: D3D40070 15C22920
	v_mul_f32_e32 v108, s47, v108                              // 0000000096D0: 0AD8D82F
	v_mul_f32_e32 v109, s47, v109                              // 0000000096D4: 0ADADA2F
	v_mfma_f32_16x16x32_f16 v[112:115], v[36:39], a[28:31], v[112:115]// 0000000096D8: D3D40070 15C23924
	ds_read_b128 a[8:11], v14 offset:2048                      // 0000000096E0: DBFE0800 0800000E
	ds_read_b128 a[12:15], v14 offset:3072                     // 0000000096E8: DBFE0C00 0C00000E
	v_mfma_f32_16x16x32_f16 v[112:115], v[40:43], a[36:39], v[112:115]// 0000000096F0: D3D40070 15C24928
	v_mul_f32_e32 v110, s47, v110                              // 0000000096F8: 0ADCDC2F
	s_cmp_ge_u32 s59, s73                                      // 0000000096FC: BF09493B
	s_cselect_b32 s66, s67, s66                                // 000000009700: 85424243
	v_mfma_f32_16x16x32_f16 v[112:115], v[44:47], a[44:47], v[112:115]// 000000009704: D3D40070 15C2592C
	ds_read_b128 a[16:19], v14 offset:16384                    // 00000000970C: DBFE4000 1000000E
	ds_read_b128 a[20:23], v14 offset:17408                    // 000000009714: DBFE4400 1400000E
	s_waitcnt lgkmcnt(10)                                      // 00000000971C: BF8CCA7F
	v_mfma_f32_16x16x32_f16 v[112:115], v[48:51], v[60:63], v[112:115]// 000000009720: D3D40070 05C27930
	s_addk_i32 s59, 0x10                                       // 000000009728: B73B0010
	v_mul_f32_e32 v111, s47, v111                              // 00000000972C: 0ADEDE2F
	s_cmp_lt_i32 s59, s58                                      // 000000009730: BF043A3B
	v_mfma_f32_16x16x32_f16 v[112:115], v[52:55], v[68:71], v[112:115]// 000000009734: D3D40070 05C28934
	ds_read_b128 a[24:27], v14 offset:18432                    // 00000000973C: DBFE4800 1800000E
	ds_read_b128 a[28:31], v14 offset:19456                    // 000000009744: DBFE4C00 1C00000E
	s_cbranch_scc0 label_12CC                                  // 00000000974C: BF84FCE4
	s_waitcnt lgkmcnt(2)                                       // 000000009750: BF8CC27F
	v_mfma_f32_16x16x32_f16 v[24:27], a[112:115], a[0:3], 0    // 000000009754: D3D40018 1A020170
	v_add_u32_e32 v4, s66, v4                                  // 00000000975C: 68080842
	v_add_u32_e32 v5, s66, v5                                  // 000000009760: 680A0A42
	v_add_u32_e32 v6, s66, v6                                  // 000000009764: 680C0C42
	v_add_u32_e32 v7, s66, v7                                  // 000000009768: 680E0E42
	v_mfma_f32_16x16x32_f16 v[24:27], a[116:119], a[4:7], v[24:27]// 00000000976C: D3D40018 1C620974
	ds_read_b128 a[32:35], v14 offset:32768                    // 000000009774: DBFE8000 2000000E
	ds_read_b128 a[36:39], v14 offset:33792                    // 00000000977C: DBFE8400 2400000E
	v_mfma_f32_16x16x32_f16 v[24:27], a[120:123], a[8:11], v[24:27]// 000000009784: D3D40018 1C621178
	v_mul_f32_e32 v112, s47, v112                              // 00000000978C: 0AE0E02F
	v_mul_f32_e32 v113, s47, v113                              // 000000009790: 0AE2E22F
	v_mfma_f32_16x16x32_f16 v[24:27], a[124:127], a[12:15], v[24:27]// 000000009794: D3D40018 1C62197C
	ds_read_b128 a[40:43], v14 offset:34816                    // 00000000979C: DBFE8800 2800000E
	ds_read_b128 a[44:47], v14 offset:35840                    // 0000000097A4: DBFE8C00 2C00000E
	v_mfma_f32_16x16x32_f16 v[28:31], a[112:115], a[16:19], 0  // 0000000097AC: D3D4001C 1A022170
	v_mul_f32_e32 v114, s47, v114                              // 0000000097B4: 0AE4E42F
	v_mul_f32_e32 v115, s47, v115                              // 0000000097B8: 0AE6E62F
	v_mfma_f32_16x16x32_f16 v[28:31], a[116:119], a[20:23], v[28:31]// 0000000097BC: D3D4001C 1C722974
	ds_read_b128 v[56:59], v14 offset:49152                    // 0000000097C4: D9FEC000 3800000E
	ds_read_b128 v[60:63], v14 offset:50176                    // 0000000097CC: D9FEC400 3C00000E
	s_waitcnt lgkmcnt(6)                                       // 0000000097D4: BF8CC67F
	v_mfma_f32_16x16x32_f16 v[28:31], a[120:123], a[24:27], v[28:31]// 0000000097D8: D3D4001C 1C723178
	v_fma_f32 v24, v24, s57, -v104                             // 0000000097E0: D1CB0018 85A07318
	v_fma_f32 v25, v25, s57, -v105                             // 0000000097E8: D1CB0019 85A47319
	v_mfma_f32_16x16x32_f16 v[28:31], a[124:127], a[28:31], v[28:31]// 0000000097F0: D3D4001C 1C72397C
	ds_read_b128 v[64:67], v14 offset:51200                    // 0000000097F8: D9FEC800 4000000E
	ds_read_b128 v[68:71], v14 offset:52224                    // 000000009800: D9FECC00 4400000E
	s_waitcnt lgkmcnt(6)                                       // 000000009808: BF8CC67F
	v_mfma_f32_16x16x32_f16 v[32:35], a[112:115], a[32:35], 0  // 00000000980C: D3D40020 1A024170
	v_fma_f32 v26, v26, s57, -v106                             // 000000009814: D1CB001A 85A8731A
	v_fma_f32 v27, v27, s57, -v107                             // 00000000981C: D1CB001B 85AC731B
	buffer_atomic_add_f32 v108, v4, s[32:35], 0 offen          // 000000009824: E1341000 80086C04
	v_mfma_f32_16x16x32_f16 v[32:35], a[116:119], a[36:39], v[32:35]// 00000000982C: D3D40020 1C824974
	ds_read_b128 v[72:75], v9 offset:20480                     // 000000009834: D9FE5000 48000009
	ds_read_b128 v[76:79], v9 offset:21504                     // 00000000983C: D9FE5400 4C000009
	s_waitcnt lgkmcnt(6)                                       // 000000009844: BF8CC67F
	v_mfma_f32_16x16x32_f16 v[32:35], a[120:123], a[40:43], v[32:35]// 000000009848: D3D40020 1C825178
	v_fma_f32 v28, v28, s57, -v104                             // 000000009850: D1CB001C 85A0731C
	v_fma_f32 v29, v29, s57, -v105                             // 000000009858: D1CB001D 85A4731D
	v_mfma_f32_16x16x32_f16 v[32:35], a[124:127], a[44:47], v[32:35]// 000000009860: D3D40020 1C82597C
	ds_read_b128 v[80:83], v9 offset:22528                     // 000000009868: D9FE5800 50000009
	ds_read_b128 v[84:87], v9 offset:23552                     // 000000009870: D9FE5C00 54000009
	s_waitcnt lgkmcnt(6)                                       // 000000009878: BF8CC67F
	v_mfma_f32_16x16x32_f16 v[36:39], a[112:115], v[56:59], 0  // 00000000987C: D3D40024 0A027170
	v_fma_f32 v30, v30, s57, -v106                             // 000000009884: D1CB001E 85A8731E
	v_fma_f32 v31, v31, s57, -v107                             // 00000000988C: D1CB001F 85AC731F
	v_mfma_f32_16x16x32_f16 v[36:39], a[116:119], v[60:63], v[36:39]// 000000009894: D3D40024 0C927974
	ds_read_b64_tr_b16 v[88:89], v10 offset:20480              // 00000000989C: D9C65000 5800000A
	ds_read_b64_tr_b16 v[90:91], v10 offset:20736              // 0000000098A4: D9C65100 5A00000A
	ds_read_b64_tr_b16 v[92:93], v10 offset:21504              // 0000000098AC: D9C65400 5C00000A
	ds_read_b64_tr_b16 v[94:95], v10 offset:21760              // 0000000098B4: D9C65500 5E00000A
	s_waitcnt lgkmcnt(8)                                       // 0000000098BC: BF8CC87F
	v_mfma_f32_16x16x32_f16 v[36:39], a[120:123], v[64:67], v[36:39]// 0000000098C0: D3D40024 0C928178
	v_fma_f32 v32, v32, s57, -v104                             // 0000000098C8: D1CB0020 85A07320
	v_fma_f32 v33, v33, s57, -v105                             // 0000000098D0: D1CB0021 85A47321
	v_fma_f32 v34, v34, s57, -v106                             // 0000000098D8: D1CB0022 85A87322
	v_fma_f32 v35, v35, s57, -v107                             // 0000000098E0: D1CB0023 85AC7323
	buffer_atomic_add_f32 v109, v5, s[32:35], 0 offen          // 0000000098E8: E1341000 80086D05
	v_mfma_f32_16x16x32_f16 v[36:39], a[124:127], v[68:71], v[36:39]// 0000000098F0: D3D40024 0C92897C
	ds_read_b64_tr_b16 v[96:97], v10 offset:22528              // 0000000098F8: D9C65800 6000000A
	ds_read_b64_tr_b16 v[98:99], v10 offset:22784              // 000000009900: D9C65900 6200000A
	ds_read_b64_tr_b16 v[100:101], v10 offset:23552            // 000000009908: D9C65C00 6400000A
	ds_read_b64_tr_b16 v[102:103], v10 offset:23808            // 000000009910: D9C65D00 6600000A
	s_cmp_lt_i32 s74, 16                                       // 000000009918: BF04904A
	s_cbranch_scc0 label_16FB                                  // 00000000991C: BF84009A
	s_mov_b32 s60, 0xffe0fffe                                  // 000000009920: BEBC00FF FFE0FFFE
	s_mov_b32 s61, 0xe000fe00                                  // 000000009928: BEBD00FF E000FE00
	s_nop 0                                                    // 000000009930: BF800000
	s_add_u32 s62, 0, s46                                      // 000000009934: 803E2E80
	s_cmp_lt_i32 s74, s62                                      // 000000009938: BF043E4A
	s_cbranch_scc1 label_1696                                  // 00000000993C: BF85002D
	s_cmp_eq_i32 s74, s62                                      // 000000009940: BF003E4A
	s_cbranch_scc1 label_167B                                  // 000000009944: BF850010
	s_add_u32 s62, 4, s46                                      // 000000009948: 803E2E84
	s_cmp_lt_i32 s74, s62                                      // 00000000994C: BF043E4A
	s_cbranch_scc1 label_16B6                                  // 000000009950: BF850048
	s_cmp_eq_i32 s74, s62                                      // 000000009954: BF003E4A
	s_cbranch_scc1 label_169B                                  // 000000009958: BF85002B
	s_add_u32 s62, 8, s46                                      // 00000000995C: 803E2E88
	s_cmp_lt_i32 s74, s62                                      // 000000009960: BF043E4A
	s_cbranch_scc1 label_16D6                                  // 000000009964: BF850063
	s_cmp_eq_i32 s74, s62                                      // 000000009968: BF003E4A
	s_cbranch_scc1 label_16BB                                  // 00000000996C: BF850046
	s_add_u32 s62, 12, s46                                     // 000000009970: 803E2E8C
	s_cmp_lt_i32 s74, s62                                      // 000000009974: BF043E4A
	s_cbranch_scc1 label_16F6                                  // 000000009978: BF85007E
	s_cmp_eq_i32 s74, s62                                      // 00000000997C: BF003E4A
	s_cbranch_scc1 label_16DB                                  // 000000009980: BF850061
	s_branch label_16FB                                        // 000000009984: BF820080

0000000000009988 <label_167B>:
	v_cndmask_b32_e64 v24, v24, v125, s[60:61]                 // 000000009988: D1000018 00F2FB18
	s_lshl_b32 s60, s60, 1                                     // 000000009990: 8E3C813C
	s_lshl_b32 s61, s61, 1                                     // 000000009994: 8E3D813D
	s_and_b32 s60, 0xfffeffff, s60                             // 000000009998: 863C3CFF FFFEFFFF
	s_and_b32 s61, 0xfffeffff, s61                             // 0000000099A0: 863D3DFF FFFEFFFF
	v_cndmask_b32_e64 v25, v25, v125, s[60:61]                 // 0000000099A8: D1000019 00F2FB19
	s_lshl_b32 s60, s60, 1                                     // 0000000099B0: 8E3C813C
	s_lshl_b32 s61, s61, 1                                     // 0000000099B4: 8E3D813D
	s_and_b32 s60, 0xfffeffff, s60                             // 0000000099B8: 863C3CFF FFFEFFFF
	s_and_b32 s61, 0xfffeffff, s61                             // 0000000099C0: 863D3DFF FFFEFFFF
	v_cndmask_b32_e64 v26, v26, v125, s[60:61]                 // 0000000099C8: D100001A 00F2FB1A
	s_lshl_b32 s60, s60, 1                                     // 0000000099D0: 8E3C813C
	s_lshl_b32 s61, s61, 1                                     // 0000000099D4: 8E3D813D
	s_and_b32 s60, 0xfffeffff, s60                             // 0000000099D8: 863C3CFF FFFEFFFF
	s_and_b32 s61, 0xfffeffff, s61                             // 0000000099E0: 863D3DFF FFFEFFFF
	v_cndmask_b32_e64 v27, v27, v125, s[60:61]                 // 0000000099E8: D100001B 00F2FB1B
	s_branch label_16B6                                        // 0000000099F0: BF820020

00000000000099f4 <label_1696>:
	v_mov_b32_e32 v24, v125                                    // 0000000099F4: 7E30037D
	v_mov_b32_e32 v25, v125                                    // 0000000099F8: 7E32037D
	v_mov_b32_e32 v26, v125                                    // 0000000099FC: 7E34037D
	v_mov_b32_e32 v27, v125                                    // 000000009A00: 7E36037D
	s_branch label_16B6                                        // 000000009A04: BF82001B

0000000000009a08 <label_169B>:
	v_cndmask_b32_e64 v28, v28, v125, s[60:61]                 // 000000009A08: D100001C 00F2FB1C
	s_lshl_b32 s60, s60, 1                                     // 000000009A10: 8E3C813C
	s_lshl_b32 s61, s61, 1                                     // 000000009A14: 8E3D813D
	s_and_b32 s60, 0xfffeffff, s60                             // 000000009A18: 863C3CFF FFFEFFFF
	s_and_b32 s61, 0xfffeffff, s61                             // 000000009A20: 863D3DFF FFFEFFFF
	v_cndmask_b32_e64 v29, v29, v125, s[60:61]                 // 000000009A28: D100001D 00F2FB1D
	s_lshl_b32 s60, s60, 1                                     // 000000009A30: 8E3C813C
	s_lshl_b32 s61, s61, 1                                     // 000000009A34: 8E3D813D
	s_and_b32 s60, 0xfffeffff, s60                             // 000000009A38: 863C3CFF FFFEFFFF
	s_and_b32 s61, 0xfffeffff, s61                             // 000000009A40: 863D3DFF FFFEFFFF
	v_cndmask_b32_e64 v30, v30, v125, s[60:61]                 // 000000009A48: D100001E 00F2FB1E
	s_lshl_b32 s60, s60, 1                                     // 000000009A50: 8E3C813C
	s_lshl_b32 s61, s61, 1                                     // 000000009A54: 8E3D813D
	s_and_b32 s60, 0xfffeffff, s60                             // 000000009A58: 863C3CFF FFFEFFFF
	s_and_b32 s61, 0xfffeffff, s61                             // 000000009A60: 863D3DFF FFFEFFFF
	v_cndmask_b32_e64 v31, v31, v125, s[60:61]                 // 000000009A68: D100001F 00F2FB1F
	s_branch label_16D6                                        // 000000009A70: BF820020

0000000000009a74 <label_16B6>:
	v_mov_b32_e32 v28, v125                                    // 000000009A74: 7E38037D
	v_mov_b32_e32 v29, v125                                    // 000000009A78: 7E3A037D
	v_mov_b32_e32 v30, v125                                    // 000000009A7C: 7E3C037D
	v_mov_b32_e32 v31, v125                                    // 000000009A80: 7E3E037D
	s_branch label_16D6                                        // 000000009A84: BF82001B

0000000000009a88 <label_16BB>:
	v_cndmask_b32_e64 v32, v32, v125, s[60:61]                 // 000000009A88: D1000020 00F2FB20
	s_lshl_b32 s60, s60, 1                                     // 000000009A90: 8E3C813C
	s_lshl_b32 s61, s61, 1                                     // 000000009A94: 8E3D813D
	s_and_b32 s60, 0xfffeffff, s60                             // 000000009A98: 863C3CFF FFFEFFFF
	s_and_b32 s61, 0xfffeffff, s61                             // 000000009AA0: 863D3DFF FFFEFFFF
	v_cndmask_b32_e64 v33, v33, v125, s[60:61]                 // 000000009AA8: D1000021 00F2FB21
	s_lshl_b32 s60, s60, 1                                     // 000000009AB0: 8E3C813C
	s_lshl_b32 s61, s61, 1                                     // 000000009AB4: 8E3D813D
	s_and_b32 s60, 0xfffeffff, s60                             // 000000009AB8: 863C3CFF FFFEFFFF
	s_and_b32 s61, 0xfffeffff, s61                             // 000000009AC0: 863D3DFF FFFEFFFF
	v_cndmask_b32_e64 v34, v34, v125, s[60:61]                 // 000000009AC8: D1000022 00F2FB22
	s_lshl_b32 s60, s60, 1                                     // 000000009AD0: 8E3C813C
	s_lshl_b32 s61, s61, 1                                     // 000000009AD4: 8E3D813D
	s_and_b32 s60, 0xfffeffff, s60                             // 000000009AD8: 863C3CFF FFFEFFFF
	s_and_b32 s61, 0xfffeffff, s61                             // 000000009AE0: 863D3DFF FFFEFFFF
	v_cndmask_b32_e64 v35, v35, v125, s[60:61]                 // 000000009AE8: D1000023 00F2FB23
	s_branch label_16F6                                        // 000000009AF0: BF820020

0000000000009af4 <label_16D6>:
	v_mov_b32_e32 v32, v125                                    // 000000009AF4: 7E40037D
	v_mov_b32_e32 v33, v125                                    // 000000009AF8: 7E42037D
	v_mov_b32_e32 v34, v125                                    // 000000009AFC: 7E44037D
	v_mov_b32_e32 v35, v125                                    // 000000009B00: 7E46037D
	s_branch label_16F6                                        // 000000009B04: BF82001B

0000000000009b08 <label_16DB>:
	v_cndmask_b32_e64 v36, v36, v125, s[60:61]                 // 000000009B08: D1000024 00F2FB24
	s_lshl_b32 s60, s60, 1                                     // 000000009B10: 8E3C813C
	s_lshl_b32 s61, s61, 1                                     // 000000009B14: 8E3D813D
	s_and_b32 s60, 0xfffeffff, s60                             // 000000009B18: 863C3CFF FFFEFFFF
	s_and_b32 s61, 0xfffeffff, s61                             // 000000009B20: 863D3DFF FFFEFFFF
	v_cndmask_b32_e64 v37, v37, v125, s[60:61]                 // 000000009B28: D1000025 00F2FB25
	s_lshl_b32 s60, s60, 1                                     // 000000009B30: 8E3C813C
	s_lshl_b32 s61, s61, 1                                     // 000000009B34: 8E3D813D
	s_and_b32 s60, 0xfffeffff, s60                             // 000000009B38: 863C3CFF FFFEFFFF
	s_and_b32 s61, 0xfffeffff, s61                             // 000000009B40: 863D3DFF FFFEFFFF
	v_cndmask_b32_e64 v38, v38, v125, s[60:61]                 // 000000009B48: D1000026 00F2FB26
	s_lshl_b32 s60, s60, 1                                     // 000000009B50: 8E3C813C
	s_lshl_b32 s61, s61, 1                                     // 000000009B54: 8E3D813D
	s_and_b32 s60, 0xfffeffff, s60                             // 000000009B58: 863C3CFF FFFEFFFF
	s_and_b32 s61, 0xfffeffff, s61                             // 000000009B60: 863D3DFF FFFEFFFF
	v_cndmask_b32_e64 v39, v39, v125, s[60:61]                 // 000000009B68: D1000027 00F2FB27
	s_branch label_16FB                                        // 000000009B70: BF820005

0000000000009b74 <label_16F6>:
	v_mov_b32_e32 v36, v125                                    // 000000009B74: 7E48037D
	v_mov_b32_e32 v37, v125                                    // 000000009B78: 7E4A037D
	v_mov_b32_e32 v38, v125                                    // 000000009B7C: 7E4C037D
	v_mov_b32_e32 v39, v125                                    // 000000009B80: 7E4E037D
	s_branch label_16FB                                        // 000000009B84: BF820000

0000000000009b88 <label_16FB>:
	s_cmp_lt_i32 s99, 0x100                                    // 000000009B88: BF04FF63 00000100
	s_cbranch_scc0 label_176C                                  // 000000009B90: BF840069
	s_cmp_le_i32 s99, 64                                       // 000000009B94: BF05C063
	s_cbranch_scc1 label_170A                                  // 000000009B98: BF85000A
	s_cmp_le_i32 s99, 0x80                                     // 000000009B9C: BF05FF63 00000080
	s_cbranch_scc1 label_1722                                  // 000000009BA4: BF85001A
	s_cmp_lt_i32 s99, 0xc0                                     // 000000009BA8: BF04FF63 000000C0
	s_cbranch_scc1 label_173A                                  // 000000009BB0: BF85002F
	s_cmp_lt_i32 s99, 0x100                                    // 000000009BB4: BF04FF63 00000100
	s_cbranch_scc1 label_1753                                  // 000000009BBC: BF850045
	s_branch label_176C                                        // 000000009BC0: BF82005D

0000000000009bc4 <label_170A>:
	s_mov_b32 s60, 0                                           // 000000009BC4: BEBC0080
	v_and_b32_e32 v20, 15, v0                                  // 000000009BC8: 2628008F
	v_add_u32_e64 v20, v20, s60                                // 000000009BCC: D1340014 00007914
	v_mul_i32_i24_e64 v21, s46, 16                             // 000000009BD4: D1060015 0001202E
	v_add_u32_e32 v20, v20, v21                                // 000000009BDC: 68282B14
	v_cmp_lt_u32_e64 s[60:61], v20, s99                        // 000000009BE0: D0C9003C 0000C714
	s_nop 1                                                    // 000000009BE8: BF800001
	v_cndmask_b32_e64 v24, v125, v24, s[60:61]                 // 000000009BEC: D1000018 00F2317D
	v_cndmask_b32_e64 v25, v125, v25, s[60:61]                 // 000000009BF4: D1000019 00F2337D
	v_cndmask_b32_e64 v26, v125, v26, s[60:61]                 // 000000009BFC: D100001A 00F2357D
	v_cndmask_b32_e64 v27, v125, v27, s[60:61]                 // 000000009C04: D100001B 00F2377D
	s_branch label_1735                                        // 000000009C0C: BF820013

0000000000009c10 <label_1722>:
	s_mov_b32 s60, 64                                          // 000000009C10: BEBC00C0
	v_and_b32_e32 v20, 15, v0                                  // 000000009C14: 2628008F
	v_add_u32_e64 v20, v20, s60                                // 000000009C18: D1340014 00007914
	v_mul_i32_i24_e64 v21, s46, 16                             // 000000009C20: D1060015 0001202E
	v_add_u32_e32 v20, v20, v21                                // 000000009C28: 68282B14
	v_cmp_lt_u32_e64 s[60:61], v20, s99                        // 000000009C2C: D0C9003C 0000C714
	s_nop 1                                                    // 000000009C34: BF800001
	v_cndmask_b32_e64 v28, v125, v28, s[60:61]                 // 000000009C38: D100001C 00F2397D
	v_cndmask_b32_e64 v29, v125, v29, s[60:61]                 // 000000009C40: D100001D 00F23B7D
	v_cndmask_b32_e64 v30, v125, v30, s[60:61]                 // 000000009C48: D100001E 00F23D7D
	v_cndmask_b32_e64 v31, v125, v31, s[60:61]                 // 000000009C50: D100001F 00F23F7D
	s_branch label_174E                                        // 000000009C58: BF820019

0000000000009c5c <label_1735>:
	v_mov_b32_e32 v28, v125                                    // 000000009C5C: 7E38037D
	v_mov_b32_e32 v29, v125                                    // 000000009C60: 7E3A037D
	v_mov_b32_e32 v30, v125                                    // 000000009C64: 7E3C037D
	v_mov_b32_e32 v31, v125                                    // 000000009C68: 7E3E037D
	s_branch label_174E                                        // 000000009C6C: BF820014

0000000000009c70 <label_173A>:
	s_mov_b32 s60, 0x80                                        // 000000009C70: BEBC00FF 00000080
	v_and_b32_e32 v20, 15, v0                                  // 000000009C78: 2628008F
	v_add_u32_e64 v20, v20, s60                                // 000000009C7C: D1340014 00007914
	v_mul_i32_i24_e64 v21, s46, 16                             // 000000009C84: D1060015 0001202E
	v_add_u32_e32 v20, v20, v21                                // 000000009C8C: 68282B14
	v_cmp_lt_u32_e64 s[60:61], v20, s99                        // 000000009C90: D0C9003C 0000C714
	s_nop 1                                                    // 000000009C98: BF800001
	v_cndmask_b32_e64 v32, v125, v32, s[60:61]                 // 000000009C9C: D1000020 00F2417D
	v_cndmask_b32_e64 v33, v125, v33, s[60:61]                 // 000000009CA4: D1000021 00F2437D
	v_cndmask_b32_e64 v34, v125, v34, s[60:61]                 // 000000009CAC: D1000022 00F2457D
	v_cndmask_b32_e64 v35, v125, v35, s[60:61]                 // 000000009CB4: D1000023 00F2477D
	s_branch label_1767                                        // 000000009CBC: BF820019

0000000000009cc0 <label_174E>:
	v_mov_b32_e32 v32, v125                                    // 000000009CC0: 7E40037D
	v_mov_b32_e32 v33, v125                                    // 000000009CC4: 7E42037D
	v_mov_b32_e32 v34, v125                                    // 000000009CC8: 7E44037D
	v_mov_b32_e32 v35, v125                                    // 000000009CCC: 7E46037D
	s_branch label_1767                                        // 000000009CD0: BF820014

0000000000009cd4 <label_1753>:
	s_mov_b32 s60, 0xc0                                        // 000000009CD4: BEBC00FF 000000C0
	v_and_b32_e32 v20, 15, v0                                  // 000000009CDC: 2628008F
	v_add_u32_e64 v20, v20, s60                                // 000000009CE0: D1340014 00007914
	v_mul_i32_i24_e64 v21, s46, 16                             // 000000009CE8: D1060015 0001202E
	v_add_u32_e32 v20, v20, v21                                // 000000009CF0: 68282B14
	v_cmp_lt_u32_e64 s[60:61], v20, s99                        // 000000009CF4: D0C9003C 0000C714
	s_nop 1                                                    // 000000009CFC: BF800001
	v_cndmask_b32_e64 v36, v125, v36, s[60:61]                 // 000000009D00: D1000024 00F2497D
	v_cndmask_b32_e64 v37, v125, v37, s[60:61]                 // 000000009D08: D1000025 00F24B7D
	v_cndmask_b32_e64 v38, v125, v38, s[60:61]                 // 000000009D10: D1000026 00F24D7D
	v_cndmask_b32_e64 v39, v125, v39, s[60:61]                 // 000000009D18: D1000027 00F24F7D
	s_branch label_176C                                        // 000000009D20: BF820005

0000000000009d24 <label_1767>:
	v_mov_b32_e32 v36, v125                                    // 000000009D24: 7E48037D
	v_mov_b32_e32 v37, v125                                    // 000000009D28: 7E4A037D
	v_mov_b32_e32 v38, v125                                    // 000000009D2C: 7E4C037D
	v_mov_b32_e32 v39, v125                                    // 000000009D30: 7E4E037D
	s_branch label_176C                                        // 000000009D34: BF820000

0000000000009d38 <label_176C>:
	s_addk_i32 s74, 0x1                                        // 000000009D38: B74A0001
	s_waitcnt lgkmcnt(8)                                       // 000000009D3C: BF8CC87F
	v_mfma_f32_16x16x32_f16 v[56:59], v[72:75], a[48:51], 0    // 000000009D40: D3D40038 12026148
	v_exp_f32_e32 v24, v24                                     // 000000009D48: 7E304118
	v_exp_f32_e32 v25, v25                                     // 000000009D4C: 7E324119
	v_mfma_f32_16x16x32_f16 v[56:59], v[76:79], a[52:55], v[56:59]// 000000009D50: D3D40038 14E2694C
	v_exp_f32_e32 v26, v26                                     // 000000009D58: 7E34411A
	v_exp_f32_e32 v27, v27                                     // 000000009D5C: 7E36411B
	v_mfma_f32_16x16x32_f16 v[56:59], v[80:83], a[56:59], v[56:59]// 000000009D60: D3D40038 14E27150
	v_fma_f32 v36, v36, s57, -v104                             // 000000009D68: D1CB0024 85A07324
	v_fma_f32 v37, v37, s57, -v105                             // 000000009D70: D1CB0025 85A47325
	v_exp_f32_e32 v28, v28                                     // 000000009D78: 7E38411C
	v_exp_f32_e32 v29, v29                                     // 000000009D7C: 7E3A411D
	v_mfma_f32_16x16x32_f16 v[56:59], v[84:87], a[60:63], v[56:59]// 000000009D80: D3D40038 14E27954
	ds_read_b64_tr_b16 a[112:113], v10 offset:4096             // 000000009D88: DBC61000 7000000A
	ds_read_b64_tr_b16 a[114:115], v10 offset:4352             // 000000009D90: DBC61100 7200000A
	v_mfma_f32_16x16x32_f16 v[60:63], v[72:75], a[64:67], 0    // 000000009D98: D3D4003C 12028148
	v_fma_f32 v38, v38, s57, -v106                             // 000000009DA0: D1CB0026 85A87326
	v_fma_f32 v39, v39, s57, -v107                             // 000000009DA8: D1CB0027 85AC7327
	v_exp_f32_e32 v30, v30                                     // 000000009DB0: 7E3C411E
	v_exp_f32_e32 v31, v31                                     // 000000009DB4: 7E3E411F
	v_mfma_f32_16x16x32_f16 v[60:63], v[76:79], a[68:71], v[60:63]// 000000009DB8: D3D4003C 14F2894C
	ds_read_b64_tr_b16 a[116:117], v10 offset:5120             // 000000009DC0: DBC61400 7400000A
	ds_read_b64_tr_b16 a[118:119], v10 offset:5376             // 000000009DC8: DBC61500 7600000A
	v_mfma_f32_16x16x32_f16 v[60:63], v[80:83], a[72:75], v[60:63]// 000000009DD0: D3D4003C 14F29150
	v_exp_f32_e32 v32, v32                                     // 000000009DD8: 7E404120
	v_exp_f32_e32 v33, v33                                     // 000000009DDC: 7E424121
	v_mfma_f32_16x16x32_f16 v[60:63], v[84:87], a[76:79], v[60:63]// 000000009DE0: D3D4003C 14F29954
	v_cvt_pk_f16_f32 v116, v24, v25                            // 000000009DE8: D2670074 00023318
	v_cvt_pk_f16_f32 v117, v26, v27                            // 000000009DF0: D2670075 0002371A
	v_exp_f32_e32 v34, v34                                     // 000000009DF8: 7E444122
	v_mfma_f32_16x16x32_f16 v[64:67], v[72:75], a[80:83], 0    // 000000009DFC: D3D40040 1202A148
	v_exp_f32_e32 v35, v35                                     // 000000009E04: 7E464123
	v_exp_f32_e32 v36, v36                                     // 000000009E08: 7E484124
	v_mfma_f32_16x16x32_f16 v[64:67], v[76:79], a[84:87], v[64:67]// 000000009E0C: D3D40040 1502A94C
	v_cvt_pk_f16_f32 v118, v28, v29                            // 000000009E14: D2670076 00023B1C
	v_cvt_pk_f16_f32 v119, v30, v31                            // 000000009E1C: D2670077 00023F1E
	v_exp_f32_e32 v37, v37                                     // 000000009E24: 7E4A4125
	v_mfma_f32_16x16x32_f16 v[64:67], v[80:83], a[88:91], v[64:67]// 000000009E28: D3D40040 1502B150
	v_exp_f32_e32 v38, v38                                     // 000000009E30: 7E4C4126
	v_exp_f32_e32 v39, v39                                     // 000000009E34: 7E4E4127
	v_permlane16_swap_b32_e32 v116, v118                       // 000000009E38: 7EE8B376
	v_mfma_f32_16x16x32_f16 v[64:67], v[84:87], a[92:95], v[64:67]// 000000009E3C: D3D40040 1502B954
	ds_read_b64_tr_b16 a[120:121], v10 offset:6144             // 000000009E44: DBC61800 7800000A
	ds_read_b64_tr_b16 a[122:123], v10 offset:6400             // 000000009E4C: DBC61900 7A00000A
	v_mfma_f32_16x16x32_f16 v[68:71], v[72:75], a[96:99], 0    // 000000009E54: D3D40044 1202C148
	v_cvt_pk_f16_f32 v120, v32, v33                            // 000000009E5C: D2670078 00024320
	v_cvt_pk_f16_f32 v121, v34, v35                            // 000000009E64: D2670079 00024722
	v_cvt_pk_f16_f32 v122, v36, v37                            // 000000009E6C: D267007A 00024B24
	v_cvt_pk_f16_f32 v123, v38, v39                            // 000000009E74: D267007B 00024F26
	v_permlane16_swap_b32_e32 v117, v119                       // 000000009E7C: 7EEAB377
	v_mfma_f32_16x16x32_f16 v[68:71], v[76:79], a[100:103], v[68:71]// 000000009E80: D3D40044 1512C94C
	ds_read_b64_tr_b16 a[124:125], v10 offset:7168             // 000000009E88: DBC61C00 7C00000A
	ds_read_b64_tr_b16 a[126:127], v10 offset:7424             // 000000009E90: DBC61D00 7E00000A
	v_mfma_f32_16x16x32_f16 v[68:71], v[80:83], a[104:107], v[68:71]// 000000009E98: D3D40044 1512D150
	v_permlane16_swap_b32_e32 v120, v122                       // 000000009EA0: 7EF0B37A
	v_mfma_f32_16x16x32_f16 v[68:71], v[84:87], a[108:111], v[68:71]// 000000009EA4: D3D40044 1512D954
	v_permlane16_swap_b32_e32 v121, v123                       // 000000009EAC: 7EF2B37B
	s_waitcnt lgkmcnt(8)                                       // 000000009EB0: BF8CC87F
	v_mfma_f32_32x32x16_f16 v[126:141], v[88:91], v[116:119], v[126:141]// 000000009EB4: D3D5007E 05FAE958
	v_subrev_f32_dpp v56, v124, v56 quad_perm:[0,0,0,0] row_mask:0xf bank_mask:0xf// 000000009EBC: 067070FA FF00007C
	v_subrev_f32_dpp v57, v124, v57 quad_perm:[1,1,1,1] row_mask:0xf bank_mask:0xf// 000000009EC4: 067272FA FF00557C
	v_subrev_f32_dpp v58, v124, v58 quad_perm:[2,2,2,2] row_mask:0xf bank_mask:0xf// 000000009ECC: 067474FA FF00AA7C
	v_subrev_f32_dpp v59, v124, v59 quad_perm:[3,3,3,3] row_mask:0xf bank_mask:0xf// 000000009ED4: 067676FA FF00FF7C
	v_subrev_f32_dpp v60, v124, v60 quad_perm:[0,0,0,0] row_mask:0xf bank_mask:0xf// 000000009EDC: 067878FA FF00007C
	v_subrev_f32_dpp v61, v124, v61 quad_perm:[1,1,1,1] row_mask:0xf bank_mask:0xf// 000000009EE4: 067A7AFA FF00557C
	v_subrev_f32_dpp v62, v124, v62 quad_perm:[2,2,2,2] row_mask:0xf bank_mask:0xf// 000000009EEC: 067C7CFA FF00AA7C
	v_subrev_f32_dpp v63, v124, v63 quad_perm:[3,3,3,3] row_mask:0xf bank_mask:0xf// 000000009EF4: 067E7EFA FF00FF7C
	v_mul_f32_e32 v56, v24, v56                                // 000000009EFC: 0A707118
	v_mul_f32_e32 v57, v25, v57                                // 000000009F00: 0A727319
	v_mfma_f32_32x32x16_f16 v[142:157], v[92:95], v[116:119], v[142:157]// 000000009F04: D3D5008E 063AE95C
	ds_read_b64_tr_b16 a[0:1], v15                             // 000000009F0C: DBC60000 0000000F
	ds_read_b64_tr_b16 a[2:3], v15 offset:256                  // 000000009F14: DBC60100 0200000F
	ds_read_b64_tr_b16 a[4:5], v16                             // 000000009F1C: DBC60000 04000010
	ds_read_b64_tr_b16 a[6:7], v16 offset:256                  // 000000009F24: DBC60100 06000010
	buffer_atomic_add_f32 v110, v6, s[32:35], 0 offen          // 000000009F2C: E1341000 80086E06
	v_mfma_f32_32x32x16_f16 v[158:173], v[96:99], v[116:119], v[158:173]// 000000009F34: D3D5009E 067AE960
	v_mul_f32_e32 v58, v26, v58                                // 000000009F3C: 0A74751A
	v_mul_f32_e32 v59, v27, v59                                // 000000009F40: 0A76771B
	v_mul_f32_e32 v60, v28, v60                                // 000000009F44: 0A78791C
	v_mul_f32_e32 v61, v29, v61                                // 000000009F48: 0A7A7B1D
	v_mul_f32_e32 v62, v30, v62                                // 000000009F4C: 0A7C7D1E
	v_mul_f32_e32 v63, v31, v63                                // 000000009F50: 0A7E7F1F
	v_cvt_pk_f16_f32 v56, v56, v57                             // 000000009F54: D2670038 00027338
	v_cvt_pk_f16_f32 v57, v58, v59                             // 000000009F5C: D2670039 0002773A
	v_cvt_pk_f16_f32 v58, v60, v61                             // 000000009F64: D267003A 00027B3C
	v_cvt_pk_f16_f32 v59, v62, v63                             // 000000009F6C: D267003B 00027F3E
	v_subrev_f32_dpp v64, v124, v64 quad_perm:[0,0,0,0] row_mask:0xf bank_mask:0xf// 000000009F74: 068080FA FF00007C
	v_subrev_f32_dpp v65, v124, v65 quad_perm:[1,1,1,1] row_mask:0xf bank_mask:0xf// 000000009F7C: 068282FA FF00557C
	v_subrev_f32_dpp v66, v124, v66 quad_perm:[2,2,2,2] row_mask:0xf bank_mask:0xf// 000000009F84: 068484FA FF00AA7C
	v_subrev_f32_dpp v67, v124, v67 quad_perm:[3,3,3,3] row_mask:0xf bank_mask:0xf// 000000009F8C: 068686FA FF00FF7C
	v_mfma_f32_32x32x16_f16 v[174:189], v[100:103], v[116:119], v[174:189]// 000000009F94: D3D500AE 06BAE964
	ds_read_b64_tr_b16 a[8:9], v15 offset:8192                 // 000000009F9C: DBC62000 0800000F
	ds_read_b64_tr_b16 a[10:11], v15 offset:8448               // 000000009FA4: DBC62100 0A00000F
	ds_read_b64_tr_b16 a[12:13], v16 offset:8192               // 000000009FAC: DBC62000 0C000010
	ds_read_b64_tr_b16 a[14:15], v16 offset:8448               // 000000009FB4: DBC62100 0E000010
	v_mfma_f32_32x32x16_f16 v[190:205], v[88:91], v[120:123], v[190:205]// 000000009FBC: D3D500BE 06FAF158
	v_subrev_f32_dpp v68, v124, v68 quad_perm:[0,0,0,0] row_mask:0xf bank_mask:0xf// 000000009FC4: 068888FA FF00007C
	v_subrev_f32_dpp v69, v124, v69 quad_perm:[1,1,1,1] row_mask:0xf bank_mask:0xf// 000000009FCC: 068A8AFA FF00557C
	v_subrev_f32_dpp v70, v124, v70 quad_perm:[2,2,2,2] row_mask:0xf bank_mask:0xf// 000000009FD4: 068C8CFA FF00AA7C
	v_subrev_f32_dpp v71, v124, v71 quad_perm:[3,3,3,3] row_mask:0xf bank_mask:0xf// 000000009FDC: 068E8EFA FF00FF7C
	v_mul_f32_e32 v64, v32, v64                                // 000000009FE4: 0A808120
	v_mul_f32_e32 v65, v33, v65                                // 000000009FE8: 0A828321
	v_mul_f32_e32 v66, v34, v66                                // 000000009FEC: 0A848522
	v_mul_f32_e32 v67, v35, v67                                // 000000009FF0: 0A868723
	v_mul_f32_e32 v68, v36, v68                                // 000000009FF4: 0A888924
	v_mul_f32_e32 v69, v37, v69                                // 000000009FF8: 0A8A8B25
	v_mul_f32_e32 v70, v38, v70                                // 000000009FFC: 0A8C8D26
	v_mul_f32_e32 v71, v39, v71                                // 00000000A000: 0A8E8F27
	v_cvt_pk_f16_f32 v60, v64, v65                             // 00000000A004: D267003C 00028340
	v_cvt_pk_f16_f32 v61, v66, v67                             // 00000000A00C: D267003D 00028742
	v_cvt_pk_f16_f32 v62, v68, v69                             // 00000000A014: D267003E 00028B44
	v_cvt_pk_f16_f32 v63, v70, v71                             // 00000000A01C: D267003F 00028F46
	v_mfma_f32_32x32x16_f16 v[206:221], v[92:95], v[120:123], v[206:221]// 00000000A024: D3D500CE 073AF15C
	ds_read_b64_tr_b16 a[16:17], v15 offset:16384              // 00000000A02C: DBC64000 1000000F
	ds_read_b64_tr_b16 a[18:19], v15 offset:16640              // 00000000A034: DBC64100 1200000F
	ds_write_b64 v12, v[56:57] offset:32768                    // 00000000A03C: D89A8000 0000380C
	ds_write_b64 v12, v[58:59] offset:35072                    // 00000000A044: D89A8900 00003A0C
	buffer_atomic_add_f32 v111, v7, s[32:35], 0 offen          // 00000000A04C: E1341000 80086F07
	v_mfma_f32_32x32x16_f16 v[222:237], v[96:99], v[120:123], v[222:237]// 00000000A054: D3D500DE 077AF160
	v_permlane16_swap_b32_e32 v56, v58                         // 00000000A05C: 7E70B33A
	v_permlane16_swap_b32_e32 v57, v59                         // 00000000A060: 7E72B33B
	s_nop 1                                                    // 00000000A064: BF800001
	v_mfma_f32_32x32x16_f16 v[238:253], v[100:103], v[120:123], v[238:253]// 00000000A068: D3D500EE 07BAF164
	ds_read_b32 v104, v13 offset:43008                         // 00000000A070: D86CA800 6800000D
	ds_read_b32 v124, v13 offset:43264                         // 00000000A078: D86CA900 7C00000D
	ds_write_b64 v12, v[60:61] offset:37376                    // 00000000A080: D89A9200 00003C0C
	ds_write_b64 v12, v[62:63] offset:39680                    // 00000000A088: D89A9B00 00003E0C
	s_waitcnt lgkmcnt(12)                                      // 00000000A090: BF8CCC7F
	v_mfma_f32_32x32x16_f16 a[128:143], a[112:115], v[56:59], a[128:143]// 00000000A094: D3D58080 0E027170
	v_permlane16_swap_b32_e32 v60, v62                         // 00000000A09C: 7E78B33E
	buffer_atomic_add_f32 v112, v4, s[32:35], 0 offen offset:64// 00000000A0A0: E1341040 80087004
	v_mfma_f32_32x32x16_f16 a[144:159], a[116:119], v[56:59], a[144:159]// 00000000A0A8: D3D58090 0E427174
	ds_read_b64_tr_b16 a[20:21], v16 offset:16384              // 00000000A0B0: DBC64000 14000010
	ds_read_b64_tr_b16 a[22:23], v16 offset:16640              // 00000000A0B8: DBC64100 16000010
	ds_read_b64_tr_b16 a[24:25], v15 offset:24576              // 00000000A0C0: DBC66000 1800000F
	ds_read_b64_tr_b16 a[26:27], v15 offset:24832              // 00000000A0C8: DBC66100 1A00000F
	ds_read_b64_tr_b16 a[28:29], v16 offset:24576              // 00000000A0D0: DBC66000 1C000010
	ds_read_b64_tr_b16 a[30:31], v16 offset:24832              // 00000000A0D8: DBC66100 1E000010
	ds_read_b64_tr_b16 a[32:33], v15 offset:32768              // 00000000A0E0: DBC68000 2000000F
	ds_read_b64_tr_b16 a[34:35], v15 offset:33024              // 00000000A0E8: DBC68100 2200000F
	s_waitcnt lgkmcnt(8)                                       // 00000000A0F0: BF8CC87F
	s_barrier                                                  // 00000000A0F4: BF8A0000
	v_mfma_f32_32x32x16_f16 a[160:175], a[120:123], v[56:59], a[160:175]// 00000000A0F8: D3D580A0 0E827178
	v_permlane16_swap_b32_e32 v61, v63                         // 00000000A100: 7E7AB33F
	v_mul_f32_e32 v104, s48, v104                              // 00000000A104: 0AD0D030
	buffer_atomic_add_f32 v113, v5, s[32:35], 0 offen offset:64// 00000000A108: E1341040 80087105
	v_mfma_f32_32x32x16_f16 a[176:191], a[124:127], v[56:59], a[176:191]// 00000000A110: D3D580B0 0EC2717C
	ds_read_b64_tr_b16 v[24:25], v11 offset:32768              // 00000000A118: D9C68000 1800000B
	ds_read_b64_tr_b16 v[26:27], v11 offset:32800              // 00000000A120: D9C68020 1A00000B
	ds_read_b64_tr_b16 v[28:29], v11 offset:33920              // 00000000A128: D9C68480 1C00000B
	ds_read_b64_tr_b16 v[30:31], v11 offset:33952              // 00000000A130: D9C684A0 1E00000B
	ds_read_b64_tr_b16 v[32:33], v11 offset:35072              // 00000000A138: D9C68900 2000000B
	ds_read_b64_tr_b16 v[34:35], v11 offset:35104              // 00000000A140: D9C68920 2200000B
	ds_read_b64_tr_b16 v[36:37], v11 offset:36224              // 00000000A148: D9C68D80 2400000B
	ds_read_b64_tr_b16 v[38:39], v11 offset:36256              // 00000000A150: D9C68DA0 2600000B
	v_mfma_f32_32x32x16_f16 a[192:207], a[112:115], v[60:63], a[192:207]// 00000000A158: D3D580C0 0F027970
	v_mov_b32_dpp v107, v104 quad_perm:[3,3,3,3] row_mask:0xf bank_mask:0xf// 00000000A160: 7ED602FA FF00FF68
	v_mov_b32_dpp v106, v104 quad_perm:[2,2,2,2] row_mask:0xf bank_mask:0xf// 00000000A168: 7ED402FA FF00AA68
	buffer_atomic_add_f32 v114, v6, s[32:35], 0 offen offset:64// 00000000A170: E1341040 80087206
	v_mfma_f32_32x32x16_f16 a[208:223], a[116:119], v[60:63], a[208:223]// 00000000A178: D3D580D0 0F427974
	ds_read_b64_tr_b16 v[40:41], v11 offset:37376              // 00000000A180: D9C69200 2800000B
	ds_read_b64_tr_b16 v[42:43], v11 offset:37408              // 00000000A188: D9C69220 2A00000B
	ds_read_b64_tr_b16 v[44:45], v11 offset:38528              // 00000000A190: D9C69680 2C00000B
	ds_read_b64_tr_b16 v[46:47], v11 offset:38560              // 00000000A198: D9C696A0 2E00000B
	ds_read_b64_tr_b16 a[36:37], v16 offset:32768              // 00000000A1A0: DBC68000 24000010
	ds_read_b64_tr_b16 a[38:39], v16 offset:33024              // 00000000A1A8: DBC68100 26000010
	ds_read_b64_tr_b16 a[40:41], v15 offset:40960              // 00000000A1B0: DBC6A000 2800000F
	ds_read_b64_tr_b16 a[42:43], v15 offset:41216              // 00000000A1B8: DBC6A100 2A00000F
	v_mfma_f32_32x32x16_f16 a[224:239], a[120:123], v[60:63], a[224:239]// 00000000A1C0: D3D580E0 0F827978
	v_mov_b32_dpp v105, v104 quad_perm:[1,1,1,1] row_mask:0xf bank_mask:0xf// 00000000A1C8: 7ED202FA FF005568
	v_mov_b32_dpp v104, v104 quad_perm:[0,0,0,0] row_mask:0xf bank_mask:0xf// 00000000A1D0: 7ED002FA FF000068
	buffer_atomic_add_f32 v115, v7, s[32:35], 0 offen offset:64// 00000000A1D8: E1341040 80087307
	v_mfma_f32_32x32x16_f16 a[240:255], a[124:127], v[60:63], a[240:255]// 00000000A1E0: D3D580F0 0FC2797C
	ds_read_b64_tr_b16 v[48:49], v11 offset:39680              // 00000000A1E8: D9C69B00 3000000B
	ds_read_b64_tr_b16 v[50:51], v11 offset:39712              // 00000000A1F0: D9C69B20 3200000B
	ds_read_b64_tr_b16 v[52:53], v11 offset:40832              // 00000000A1F8: D9C69F80 3400000B
	ds_read_b64_tr_b16 v[54:55], v11 offset:40864              // 00000000A200: D9C69FA0 3600000B
	ds_read_b64_tr_b16 a[44:45], v16 offset:40960              // 00000000A208: DBC6A000 2C000010
	ds_read_b64_tr_b16 a[46:47], v16 offset:41216              // 00000000A210: DBC6A100 2E000010
	s_waitcnt vmcnt(8) lgkmcnt(6)                              // 00000000A218: BF8C0678
	s_barrier                                                  // 00000000A21C: BF8A0000
	v_mfma_f32_16x16x32_f16 v[108:111], v[24:27], a[0:3], 0    // 00000000A220: D3D4006C 12020118
	s_mov_b32 m0, s82                                          // 00000000A228: BEFC0052
	buffer_load_dwordx4 v1, s[8:11], 0 idxen lds               // 00000000A22C: E05D2000 80020001
	v_mfma_f32_16x16x32_f16 v[108:111], v[28:31], a[8:11], v[108:111]// 00000000A234: D3D4006C 15B2111C
	ds_read_b64_tr_b16 v[56:57], v15 offset:49152              // 00000000A23C: D9C6C000 3800000F
	ds_read_b64_tr_b16 v[58:59], v15 offset:49408              // 00000000A244: D9C6C100 3A00000F
	ds_read_b64_tr_b16 v[60:61], v16 offset:49152              // 00000000A24C: D9C6C000 3C000010
	ds_read_b64_tr_b16 v[62:63], v16 offset:49408              // 00000000A254: D9C6C100 3E000010
	v_mfma_f32_16x16x32_f16 v[108:111], v[32:35], a[16:19], v[108:111]// 00000000A25C: D3D4006C 15B22120
	s_mov_b32 m0, s86                                          // 00000000A264: BEFC0056
	buffer_load_dwordx4 v254, s[20:23], 0 idxen lds            // 00000000A268: E05D2000 800500FE
	v_mfma_f32_16x16x32_f16 v[108:111], v[36:39], a[24:27], v[108:111]// 00000000A270: D3D4006C 15B23124
	ds_read_b64_tr_b16 v[64:65], v15 offset:57344              // 00000000A278: D9C6E000 4000000F
	ds_read_b64_tr_b16 v[66:67], v15 offset:57600              // 00000000A280: D9C6E100 4200000F
	ds_read_b64_tr_b16 v[68:69], v16 offset:57344              // 00000000A288: D9C6E000 44000010
	ds_read_b64_tr_b16 v[70:71], v16 offset:57600              // 00000000A290: D9C6E100 46000010
	v_mfma_f32_16x16x32_f16 v[108:111], v[40:43], a[32:35], v[108:111]// 00000000A298: D3D4006C 15B24128
	s_mov_b32 m0, s78                                          // 00000000A2A0: BEFC004E
	buffer_load_dword v8, s[24:27], 0 idxen lds                // 00000000A2A4: E0512000 80060008
	v_mfma_f32_16x16x32_f16 v[108:111], v[44:47], a[40:43], v[108:111]// 00000000A2AC: D3D4006C 15B2512C
	ds_read_b128 a[112:115], v9 offset:8192                    // 00000000A2B4: DBFE2000 70000009
	ds_read_b128 a[116:119], v9 offset:9216                    // 00000000A2BC: DBFE2400 74000009
	s_waitcnt lgkmcnt(4)                                       // 00000000A2C4: BF8CC47F
	s_barrier                                                  // 00000000A2C8: BF8A0000
	v_mfma_f32_16x16x32_f16 v[108:111], v[48:51], v[56:59], v[108:111]// 00000000A2CC: D3D4006C 05B27130
	s_add_u32 s60, 64, s59                                     // 00000000A2D4: 803C3BC0
	s_cmp_lt_u32 s60, s58                                      // 00000000A2D8: BF0A3A3C
	s_cselect_b32 s68, s68, 0                                  // 00000000A2DC: 85448044
	s_cselect_b32 s98, s98, 0                                  // 00000000A2E0: 85628062
	s_cselect_b32 s69, s69, 0                                  // 00000000A2E4: 85458045
	v_mfma_f32_16x16x32_f16 v[108:111], v[52:55], v[64:67], v[108:111]// 00000000A2E8: D3D4006C 05B28134
	ds_read_b128 a[120:123], v9 offset:10240                   // 00000000A2F0: DBFE2800 78000009
	ds_read_b128 a[124:127], v9 offset:11264                   // 00000000A2F8: DBFE2C00 7C000009
	v_mfma_f32_16x16x32_f16 v[112:115], v[24:27], a[4:7], 0    // 00000000A300: D3D40070 12020918
	v_add_u32_e32 v1, s68, v1                                  // 00000000A308: 68020244
	v_add_u32_e32 v254, s98, v254                              // 00000000A30C: 69FDFC62
	v_add_u32_e32 v8, s69, v8                                  // 00000000A310: 68101045
	v_mfma_f32_16x16x32_f16 v[112:115], v[28:31], a[12:15], v[112:115]// 00000000A314: D3D40070 15C2191C
	ds_read_b128 a[0:3], v14                                   // 00000000A31C: DBFE0000 0000000E
	ds_read_b128 a[4:7], v14 offset:1024                       // 00000000A324: DBFE0400 0400000E
	v_mfma_f32_16x16x32_f16 v[112:115], v[32:35], a[20:23], v[112:115]// 00000000A32C: D3D40070 15C22920
	v_mul_f32_e32 v108, s47, v108                              // 00000000A334: 0AD8D82F
	v_mul_f32_e32 v109, s47, v109                              // 00000000A338: 0ADADA2F
	v_mfma_f32_16x16x32_f16 v[112:115], v[36:39], a[28:31], v[112:115]// 00000000A33C: D3D40070 15C23924
	ds_read_b128 a[8:11], v14 offset:2048                      // 00000000A344: DBFE0800 0800000E
	ds_read_b128 a[12:15], v14 offset:3072                     // 00000000A34C: DBFE0C00 0C00000E
	v_mfma_f32_16x16x32_f16 v[112:115], v[40:43], a[36:39], v[112:115]// 00000000A354: D3D40070 15C24928
	v_mul_f32_e32 v110, s47, v110                              // 00000000A35C: 0ADCDC2F
	s_cmp_ge_u32 s59, s73                                      // 00000000A360: BF09493B
	s_cselect_b32 s66, s67, s66                                // 00000000A364: 85424243
	v_mfma_f32_16x16x32_f16 v[112:115], v[44:47], a[44:47], v[112:115]// 00000000A368: D3D40070 15C2592C
	ds_read_b128 a[16:19], v14 offset:16384                    // 00000000A370: DBFE4000 1000000E
	ds_read_b128 a[20:23], v14 offset:17408                    // 00000000A378: DBFE4400 1400000E
	s_waitcnt lgkmcnt(10)                                      // 00000000A380: BF8CCA7F
	v_mfma_f32_16x16x32_f16 v[112:115], v[48:51], v[60:63], v[112:115]// 00000000A384: D3D40070 05C27930
	s_addk_i32 s59, 0x10                                       // 00000000A38C: B73B0010
	v_mul_f32_e32 v111, s47, v111                              // 00000000A390: 0ADEDE2F
	s_cmp_lt_i32 s59, s58                                      // 00000000A394: BF043A3B
	v_mfma_f32_16x16x32_f16 v[112:115], v[52:55], v[68:71], v[112:115]// 00000000A398: D3D40070 05C28934
	ds_read_b128 a[24:27], v14 offset:18432                    // 00000000A3A0: DBFE4800 1800000E
	ds_read_b128 a[28:31], v14 offset:19456                    // 00000000A3A8: DBFE4C00 1C00000E
	s_cbranch_scc0 label_12CC                                  // 00000000A3B0: BF84F9CB
	s_waitcnt lgkmcnt(2)                                       // 00000000A3B4: BF8CC27F
	v_mfma_f32_16x16x32_f16 v[24:27], a[112:115], a[0:3], 0    // 00000000A3B8: D3D40018 1A020170
	v_add_u32_e32 v4, s66, v4                                  // 00000000A3C0: 68080842
	v_add_u32_e32 v5, s66, v5                                  // 00000000A3C4: 680A0A42
	v_add_u32_e32 v6, s66, v6                                  // 00000000A3C8: 680C0C42
	v_add_u32_e32 v7, s66, v7                                  // 00000000A3CC: 680E0E42
	v_mfma_f32_16x16x32_f16 v[24:27], a[116:119], a[4:7], v[24:27]// 00000000A3D0: D3D40018 1C620974
	ds_read_b128 a[32:35], v14 offset:32768                    // 00000000A3D8: DBFE8000 2000000E
	ds_read_b128 a[36:39], v14 offset:33792                    // 00000000A3E0: DBFE8400 2400000E
	v_mfma_f32_16x16x32_f16 v[24:27], a[120:123], a[8:11], v[24:27]// 00000000A3E8: D3D40018 1C621178
	v_mul_f32_e32 v112, s47, v112                              // 00000000A3F0: 0AE0E02F
	v_mul_f32_e32 v113, s47, v113                              // 00000000A3F4: 0AE2E22F
	v_mfma_f32_16x16x32_f16 v[24:27], a[124:127], a[12:15], v[24:27]// 00000000A3F8: D3D40018 1C62197C
	ds_read_b128 a[40:43], v14 offset:34816                    // 00000000A400: DBFE8800 2800000E
	ds_read_b128 a[44:47], v14 offset:35840                    // 00000000A408: DBFE8C00 2C00000E
	v_mfma_f32_16x16x32_f16 v[28:31], a[112:115], a[16:19], 0  // 00000000A410: D3D4001C 1A022170
	v_mul_f32_e32 v114, s47, v114                              // 00000000A418: 0AE4E42F
	v_mul_f32_e32 v115, s47, v115                              // 00000000A41C: 0AE6E62F
	v_mfma_f32_16x16x32_f16 v[28:31], a[116:119], a[20:23], v[28:31]// 00000000A420: D3D4001C 1C722974
	ds_read_b128 v[56:59], v14 offset:49152                    // 00000000A428: D9FEC000 3800000E
	ds_read_b128 v[60:63], v14 offset:50176                    // 00000000A430: D9FEC400 3C00000E
	s_waitcnt lgkmcnt(6)                                       // 00000000A438: BF8CC67F
	v_mfma_f32_16x16x32_f16 v[28:31], a[120:123], a[24:27], v[28:31]// 00000000A43C: D3D4001C 1C723178
	v_fma_f32 v24, v24, s57, -v104                             // 00000000A444: D1CB0018 85A07318
	v_fma_f32 v25, v25, s57, -v105                             // 00000000A44C: D1CB0019 85A47319
	v_mfma_f32_16x16x32_f16 v[28:31], a[124:127], a[28:31], v[28:31]// 00000000A454: D3D4001C 1C72397C
	ds_read_b128 v[64:67], v14 offset:51200                    // 00000000A45C: D9FEC800 4000000E
	ds_read_b128 v[68:71], v14 offset:52224                    // 00000000A464: D9FECC00 4400000E
	s_waitcnt lgkmcnt(6)                                       // 00000000A46C: BF8CC67F
	v_mfma_f32_16x16x32_f16 v[32:35], a[112:115], a[32:35], 0  // 00000000A470: D3D40020 1A024170
	v_fma_f32 v26, v26, s57, -v106                             // 00000000A478: D1CB001A 85A8731A
	v_fma_f32 v27, v27, s57, -v107                             // 00000000A480: D1CB001B 85AC731B
	buffer_atomic_add_f32 v108, v4, s[32:35], 0 offen          // 00000000A488: E1341000 80086C04
	v_mfma_f32_16x16x32_f16 v[32:35], a[116:119], a[36:39], v[32:35]// 00000000A490: D3D40020 1C824974
	ds_read_b128 v[72:75], v9 offset:24576                     // 00000000A498: D9FE6000 48000009
	ds_read_b128 v[76:79], v9 offset:25600                     // 00000000A4A0: D9FE6400 4C000009
	s_waitcnt lgkmcnt(6)                                       // 00000000A4A8: BF8CC67F
	v_mfma_f32_16x16x32_f16 v[32:35], a[120:123], a[40:43], v[32:35]// 00000000A4AC: D3D40020 1C825178
	v_fma_f32 v28, v28, s57, -v104                             // 00000000A4B4: D1CB001C 85A0731C
	v_fma_f32 v29, v29, s57, -v105                             // 00000000A4BC: D1CB001D 85A4731D
	v_mfma_f32_16x16x32_f16 v[32:35], a[124:127], a[44:47], v[32:35]// 00000000A4C4: D3D40020 1C82597C
	ds_read_b128 v[80:83], v9 offset:26624                     // 00000000A4CC: D9FE6800 50000009
	ds_read_b128 v[84:87], v9 offset:27648                     // 00000000A4D4: D9FE6C00 54000009
	s_waitcnt lgkmcnt(6)                                       // 00000000A4DC: BF8CC67F
	v_mfma_f32_16x16x32_f16 v[36:39], a[112:115], v[56:59], 0  // 00000000A4E0: D3D40024 0A027170
	v_fma_f32 v30, v30, s57, -v106                             // 00000000A4E8: D1CB001E 85A8731E
	v_fma_f32 v31, v31, s57, -v107                             // 00000000A4F0: D1CB001F 85AC731F
	v_mfma_f32_16x16x32_f16 v[36:39], a[116:119], v[60:63], v[36:39]// 00000000A4F8: D3D40024 0C927974
	ds_read_b64_tr_b16 v[88:89], v10 offset:24576              // 00000000A500: D9C66000 5800000A
	ds_read_b64_tr_b16 v[90:91], v10 offset:24832              // 00000000A508: D9C66100 5A00000A
	ds_read_b64_tr_b16 v[92:93], v10 offset:25600              // 00000000A510: D9C66400 5C00000A
	ds_read_b64_tr_b16 v[94:95], v10 offset:25856              // 00000000A518: D9C66500 5E00000A
	s_waitcnt lgkmcnt(8)                                       // 00000000A520: BF8CC87F
	v_mfma_f32_16x16x32_f16 v[36:39], a[120:123], v[64:67], v[36:39]// 00000000A524: D3D40024 0C928178
	v_fma_f32 v32, v32, s57, -v104                             // 00000000A52C: D1CB0020 85A07320
	v_fma_f32 v33, v33, s57, -v105                             // 00000000A534: D1CB0021 85A47321
	v_fma_f32 v34, v34, s57, -v106                             // 00000000A53C: D1CB0022 85A87322
	v_fma_f32 v35, v35, s57, -v107                             // 00000000A544: D1CB0023 85AC7323
	buffer_atomic_add_f32 v109, v5, s[32:35], 0 offen          // 00000000A54C: E1341000 80086D05
	v_mfma_f32_16x16x32_f16 v[36:39], a[124:127], v[68:71], v[36:39]// 00000000A554: D3D40024 0C92897C
	ds_read_b64_tr_b16 v[96:97], v10 offset:26624              // 00000000A55C: D9C66800 6000000A
	ds_read_b64_tr_b16 v[98:99], v10 offset:26880              // 00000000A564: D9C66900 6200000A
	ds_read_b64_tr_b16 v[100:101], v10 offset:27648            // 00000000A56C: D9C66C00 6400000A
	ds_read_b64_tr_b16 v[102:103], v10 offset:27904            // 00000000A574: D9C66D00 6600000A
	s_cmp_lt_i32 s74, 16                                       // 00000000A57C: BF04904A
	s_cbranch_scc0 label_1A19                                  // 00000000A580: BF84009A
	s_mov_b32 s60, 0xffe0fffe                                  // 00000000A584: BEBC00FF FFE0FFFE
	s_mov_b32 s61, 0xe000fe00                                  // 00000000A58C: BEBD00FF E000FE00
	s_nop 0                                                    // 00000000A594: BF800000
	s_add_u32 s62, 0, s46                                      // 00000000A598: 803E2E80
	s_cmp_lt_i32 s74, s62                                      // 00000000A59C: BF043E4A
	s_cbranch_scc1 label_19B4                                  // 00000000A5A0: BF85002D
	s_cmp_eq_i32 s74, s62                                      // 00000000A5A4: BF003E4A
	s_cbranch_scc1 label_1999                                  // 00000000A5A8: BF850010
	s_add_u32 s62, 4, s46                                      // 00000000A5AC: 803E2E84
	s_cmp_lt_i32 s74, s62                                      // 00000000A5B0: BF043E4A
	s_cbranch_scc1 label_19D4                                  // 00000000A5B4: BF850048
	s_cmp_eq_i32 s74, s62                                      // 00000000A5B8: BF003E4A
	s_cbranch_scc1 label_19B9                                  // 00000000A5BC: BF85002B
	s_add_u32 s62, 8, s46                                      // 00000000A5C0: 803E2E88
	s_cmp_lt_i32 s74, s62                                      // 00000000A5C4: BF043E4A
	s_cbranch_scc1 label_19F4                                  // 00000000A5C8: BF850063
	s_cmp_eq_i32 s74, s62                                      // 00000000A5CC: BF003E4A
	s_cbranch_scc1 label_19D9                                  // 00000000A5D0: BF850046
	s_add_u32 s62, 12, s46                                     // 00000000A5D4: 803E2E8C
	s_cmp_lt_i32 s74, s62                                      // 00000000A5D8: BF043E4A
	s_cbranch_scc1 label_1A14                                  // 00000000A5DC: BF85007E
	s_cmp_eq_i32 s74, s62                                      // 00000000A5E0: BF003E4A
	s_cbranch_scc1 label_19F9                                  // 00000000A5E4: BF850061
	s_branch label_1A19                                        // 00000000A5E8: BF820080

000000000000a5ec <label_1999>:
	v_cndmask_b32_e64 v24, v24, v125, s[60:61]                 // 00000000A5EC: D1000018 00F2FB18
	s_lshl_b32 s60, s60, 1                                     // 00000000A5F4: 8E3C813C
	s_lshl_b32 s61, s61, 1                                     // 00000000A5F8: 8E3D813D
	s_and_b32 s60, 0xfffeffff, s60                             // 00000000A5FC: 863C3CFF FFFEFFFF
	s_and_b32 s61, 0xfffeffff, s61                             // 00000000A604: 863D3DFF FFFEFFFF
	v_cndmask_b32_e64 v25, v25, v125, s[60:61]                 // 00000000A60C: D1000019 00F2FB19
	s_lshl_b32 s60, s60, 1                                     // 00000000A614: 8E3C813C
	s_lshl_b32 s61, s61, 1                                     // 00000000A618: 8E3D813D
	s_and_b32 s60, 0xfffeffff, s60                             // 00000000A61C: 863C3CFF FFFEFFFF
	s_and_b32 s61, 0xfffeffff, s61                             // 00000000A624: 863D3DFF FFFEFFFF
	v_cndmask_b32_e64 v26, v26, v125, s[60:61]                 // 00000000A62C: D100001A 00F2FB1A
	s_lshl_b32 s60, s60, 1                                     // 00000000A634: 8E3C813C
	s_lshl_b32 s61, s61, 1                                     // 00000000A638: 8E3D813D
	s_and_b32 s60, 0xfffeffff, s60                             // 00000000A63C: 863C3CFF FFFEFFFF
	s_and_b32 s61, 0xfffeffff, s61                             // 00000000A644: 863D3DFF FFFEFFFF
	v_cndmask_b32_e64 v27, v27, v125, s[60:61]                 // 00000000A64C: D100001B 00F2FB1B
	s_branch label_19D4                                        // 00000000A654: BF820020

000000000000a658 <label_19B4>:
	v_mov_b32_e32 v24, v125                                    // 00000000A658: 7E30037D
	v_mov_b32_e32 v25, v125                                    // 00000000A65C: 7E32037D
	v_mov_b32_e32 v26, v125                                    // 00000000A660: 7E34037D
	v_mov_b32_e32 v27, v125                                    // 00000000A664: 7E36037D
	s_branch label_19D4                                        // 00000000A668: BF82001B

000000000000a66c <label_19B9>:
	v_cndmask_b32_e64 v28, v28, v125, s[60:61]                 // 00000000A66C: D100001C 00F2FB1C
	s_lshl_b32 s60, s60, 1                                     // 00000000A674: 8E3C813C
	s_lshl_b32 s61, s61, 1                                     // 00000000A678: 8E3D813D
	s_and_b32 s60, 0xfffeffff, s60                             // 00000000A67C: 863C3CFF FFFEFFFF
	s_and_b32 s61, 0xfffeffff, s61                             // 00000000A684: 863D3DFF FFFEFFFF
	v_cndmask_b32_e64 v29, v29, v125, s[60:61]                 // 00000000A68C: D100001D 00F2FB1D
	s_lshl_b32 s60, s60, 1                                     // 00000000A694: 8E3C813C
	s_lshl_b32 s61, s61, 1                                     // 00000000A698: 8E3D813D
	s_and_b32 s60, 0xfffeffff, s60                             // 00000000A69C: 863C3CFF FFFEFFFF
	s_and_b32 s61, 0xfffeffff, s61                             // 00000000A6A4: 863D3DFF FFFEFFFF
	v_cndmask_b32_e64 v30, v30, v125, s[60:61]                 // 00000000A6AC: D100001E 00F2FB1E
	s_lshl_b32 s60, s60, 1                                     // 00000000A6B4: 8E3C813C
	s_lshl_b32 s61, s61, 1                                     // 00000000A6B8: 8E3D813D
	s_and_b32 s60, 0xfffeffff, s60                             // 00000000A6BC: 863C3CFF FFFEFFFF
	s_and_b32 s61, 0xfffeffff, s61                             // 00000000A6C4: 863D3DFF FFFEFFFF
	v_cndmask_b32_e64 v31, v31, v125, s[60:61]                 // 00000000A6CC: D100001F 00F2FB1F
	s_branch label_19F4                                        // 00000000A6D4: BF820020

000000000000a6d8 <label_19D4>:
	v_mov_b32_e32 v28, v125                                    // 00000000A6D8: 7E38037D
	v_mov_b32_e32 v29, v125                                    // 00000000A6DC: 7E3A037D
	v_mov_b32_e32 v30, v125                                    // 00000000A6E0: 7E3C037D
	v_mov_b32_e32 v31, v125                                    // 00000000A6E4: 7E3E037D
	s_branch label_19F4                                        // 00000000A6E8: BF82001B

000000000000a6ec <label_19D9>:
	v_cndmask_b32_e64 v32, v32, v125, s[60:61]                 // 00000000A6EC: D1000020 00F2FB20
	s_lshl_b32 s60, s60, 1                                     // 00000000A6F4: 8E3C813C
	s_lshl_b32 s61, s61, 1                                     // 00000000A6F8: 8E3D813D
	s_and_b32 s60, 0xfffeffff, s60                             // 00000000A6FC: 863C3CFF FFFEFFFF
	s_and_b32 s61, 0xfffeffff, s61                             // 00000000A704: 863D3DFF FFFEFFFF
	v_cndmask_b32_e64 v33, v33, v125, s[60:61]                 // 00000000A70C: D1000021 00F2FB21
	s_lshl_b32 s60, s60, 1                                     // 00000000A714: 8E3C813C
	s_lshl_b32 s61, s61, 1                                     // 00000000A718: 8E3D813D
	s_and_b32 s60, 0xfffeffff, s60                             // 00000000A71C: 863C3CFF FFFEFFFF
	s_and_b32 s61, 0xfffeffff, s61                             // 00000000A724: 863D3DFF FFFEFFFF
	v_cndmask_b32_e64 v34, v34, v125, s[60:61]                 // 00000000A72C: D1000022 00F2FB22
	s_lshl_b32 s60, s60, 1                                     // 00000000A734: 8E3C813C
	s_lshl_b32 s61, s61, 1                                     // 00000000A738: 8E3D813D
	s_and_b32 s60, 0xfffeffff, s60                             // 00000000A73C: 863C3CFF FFFEFFFF
	s_and_b32 s61, 0xfffeffff, s61                             // 00000000A744: 863D3DFF FFFEFFFF
	v_cndmask_b32_e64 v35, v35, v125, s[60:61]                 // 00000000A74C: D1000023 00F2FB23
	s_branch label_1A14                                        // 00000000A754: BF820020

000000000000a758 <label_19F4>:
	v_mov_b32_e32 v32, v125                                    // 00000000A758: 7E40037D
	v_mov_b32_e32 v33, v125                                    // 00000000A75C: 7E42037D
	v_mov_b32_e32 v34, v125                                    // 00000000A760: 7E44037D
	v_mov_b32_e32 v35, v125                                    // 00000000A764: 7E46037D
	s_branch label_1A14                                        // 00000000A768: BF82001B

000000000000a76c <label_19F9>:
	v_cndmask_b32_e64 v36, v36, v125, s[60:61]                 // 00000000A76C: D1000024 00F2FB24
	s_lshl_b32 s60, s60, 1                                     // 00000000A774: 8E3C813C
	s_lshl_b32 s61, s61, 1                                     // 00000000A778: 8E3D813D
	s_and_b32 s60, 0xfffeffff, s60                             // 00000000A77C: 863C3CFF FFFEFFFF
	s_and_b32 s61, 0xfffeffff, s61                             // 00000000A784: 863D3DFF FFFEFFFF
	v_cndmask_b32_e64 v37, v37, v125, s[60:61]                 // 00000000A78C: D1000025 00F2FB25
	s_lshl_b32 s60, s60, 1                                     // 00000000A794: 8E3C813C
	s_lshl_b32 s61, s61, 1                                     // 00000000A798: 8E3D813D
	s_and_b32 s60, 0xfffeffff, s60                             // 00000000A79C: 863C3CFF FFFEFFFF
	s_and_b32 s61, 0xfffeffff, s61                             // 00000000A7A4: 863D3DFF FFFEFFFF
	v_cndmask_b32_e64 v38, v38, v125, s[60:61]                 // 00000000A7AC: D1000026 00F2FB26
	s_lshl_b32 s60, s60, 1                                     // 00000000A7B4: 8E3C813C
	s_lshl_b32 s61, s61, 1                                     // 00000000A7B8: 8E3D813D
	s_and_b32 s60, 0xfffeffff, s60                             // 00000000A7BC: 863C3CFF FFFEFFFF
	s_and_b32 s61, 0xfffeffff, s61                             // 00000000A7C4: 863D3DFF FFFEFFFF
	v_cndmask_b32_e64 v39, v39, v125, s[60:61]                 // 00000000A7CC: D1000027 00F2FB27
	s_branch label_1A19                                        // 00000000A7D4: BF820005

000000000000a7d8 <label_1A14>:
	v_mov_b32_e32 v36, v125                                    // 00000000A7D8: 7E48037D
	v_mov_b32_e32 v37, v125                                    // 00000000A7DC: 7E4A037D
	v_mov_b32_e32 v38, v125                                    // 00000000A7E0: 7E4C037D
	v_mov_b32_e32 v39, v125                                    // 00000000A7E4: 7E4E037D
	s_branch label_1A19                                        // 00000000A7E8: BF820000

000000000000a7ec <label_1A19>:
	s_cmp_lt_i32 s99, 0x100                                    // 00000000A7EC: BF04FF63 00000100
	s_cbranch_scc0 label_1A8A                                  // 00000000A7F4: BF840069
	s_cmp_le_i32 s99, 64                                       // 00000000A7F8: BF05C063
	s_cbranch_scc1 label_1A28                                  // 00000000A7FC: BF85000A
	s_cmp_le_i32 s99, 0x80                                     // 00000000A800: BF05FF63 00000080
	s_cbranch_scc1 label_1A40                                  // 00000000A808: BF85001A
	s_cmp_lt_i32 s99, 0xc0                                     // 00000000A80C: BF04FF63 000000C0
	s_cbranch_scc1 label_1A58                                  // 00000000A814: BF85002F
	s_cmp_lt_i32 s99, 0x100                                    // 00000000A818: BF04FF63 00000100
	s_cbranch_scc1 label_1A71                                  // 00000000A820: BF850045
	s_branch label_1A8A                                        // 00000000A824: BF82005D

000000000000a828 <label_1A28>:
	s_mov_b32 s60, 0                                           // 00000000A828: BEBC0080
	v_and_b32_e32 v20, 15, v0                                  // 00000000A82C: 2628008F
	v_add_u32_e64 v20, v20, s60                                // 00000000A830: D1340014 00007914
	v_mul_i32_i24_e64 v21, s46, 16                             // 00000000A838: D1060015 0001202E
	v_add_u32_e32 v20, v20, v21                                // 00000000A840: 68282B14
	v_cmp_lt_u32_e64 s[60:61], v20, s99                        // 00000000A844: D0C9003C 0000C714
	s_nop 1                                                    // 00000000A84C: BF800001
	v_cndmask_b32_e64 v24, v125, v24, s[60:61]                 // 00000000A850: D1000018 00F2317D
	v_cndmask_b32_e64 v25, v125, v25, s[60:61]                 // 00000000A858: D1000019 00F2337D
	v_cndmask_b32_e64 v26, v125, v26, s[60:61]                 // 00000000A860: D100001A 00F2357D
	v_cndmask_b32_e64 v27, v125, v27, s[60:61]                 // 00000000A868: D100001B 00F2377D
	s_branch label_1A53                                        // 00000000A870: BF820013

000000000000a874 <label_1A40>:
	s_mov_b32 s60, 64                                          // 00000000A874: BEBC00C0
	v_and_b32_e32 v20, 15, v0                                  // 00000000A878: 2628008F
	v_add_u32_e64 v20, v20, s60                                // 00000000A87C: D1340014 00007914
	v_mul_i32_i24_e64 v21, s46, 16                             // 00000000A884: D1060015 0001202E
	v_add_u32_e32 v20, v20, v21                                // 00000000A88C: 68282B14
	v_cmp_lt_u32_e64 s[60:61], v20, s99                        // 00000000A890: D0C9003C 0000C714
	s_nop 1                                                    // 00000000A898: BF800001
	v_cndmask_b32_e64 v28, v125, v28, s[60:61]                 // 00000000A89C: D100001C 00F2397D
	v_cndmask_b32_e64 v29, v125, v29, s[60:61]                 // 00000000A8A4: D100001D 00F23B7D
	v_cndmask_b32_e64 v30, v125, v30, s[60:61]                 // 00000000A8AC: D100001E 00F23D7D
	v_cndmask_b32_e64 v31, v125, v31, s[60:61]                 // 00000000A8B4: D100001F 00F23F7D
	s_branch label_1A6C                                        // 00000000A8BC: BF820019

000000000000a8c0 <label_1A53>:
	v_mov_b32_e32 v28, v125                                    // 00000000A8C0: 7E38037D
	v_mov_b32_e32 v29, v125                                    // 00000000A8C4: 7E3A037D
	v_mov_b32_e32 v30, v125                                    // 00000000A8C8: 7E3C037D
	v_mov_b32_e32 v31, v125                                    // 00000000A8CC: 7E3E037D
	s_branch label_1A6C                                        // 00000000A8D0: BF820014

000000000000a8d4 <label_1A58>:
	s_mov_b32 s60, 0x80                                        // 00000000A8D4: BEBC00FF 00000080
	v_and_b32_e32 v20, 15, v0                                  // 00000000A8DC: 2628008F
	v_add_u32_e64 v20, v20, s60                                // 00000000A8E0: D1340014 00007914
	v_mul_i32_i24_e64 v21, s46, 16                             // 00000000A8E8: D1060015 0001202E
	v_add_u32_e32 v20, v20, v21                                // 00000000A8F0: 68282B14
	v_cmp_lt_u32_e64 s[60:61], v20, s99                        // 00000000A8F4: D0C9003C 0000C714
	s_nop 1                                                    // 00000000A8FC: BF800001
	v_cndmask_b32_e64 v32, v125, v32, s[60:61]                 // 00000000A900: D1000020 00F2417D
	v_cndmask_b32_e64 v33, v125, v33, s[60:61]                 // 00000000A908: D1000021 00F2437D
	v_cndmask_b32_e64 v34, v125, v34, s[60:61]                 // 00000000A910: D1000022 00F2457D
	v_cndmask_b32_e64 v35, v125, v35, s[60:61]                 // 00000000A918: D1000023 00F2477D
	s_branch label_1A85                                        // 00000000A920: BF820019

000000000000a924 <label_1A6C>:
	v_mov_b32_e32 v32, v125                                    // 00000000A924: 7E40037D
	v_mov_b32_e32 v33, v125                                    // 00000000A928: 7E42037D
	v_mov_b32_e32 v34, v125                                    // 00000000A92C: 7E44037D
	v_mov_b32_e32 v35, v125                                    // 00000000A930: 7E46037D
	s_branch label_1A85                                        // 00000000A934: BF820014

000000000000a938 <label_1A71>:
	s_mov_b32 s60, 0xc0                                        // 00000000A938: BEBC00FF 000000C0
	v_and_b32_e32 v20, 15, v0                                  // 00000000A940: 2628008F
	v_add_u32_e64 v20, v20, s60                                // 00000000A944: D1340014 00007914
	v_mul_i32_i24_e64 v21, s46, 16                             // 00000000A94C: D1060015 0001202E
	v_add_u32_e32 v20, v20, v21                                // 00000000A954: 68282B14
	v_cmp_lt_u32_e64 s[60:61], v20, s99                        // 00000000A958: D0C9003C 0000C714
	s_nop 1                                                    // 00000000A960: BF800001
	v_cndmask_b32_e64 v36, v125, v36, s[60:61]                 // 00000000A964: D1000024 00F2497D
	v_cndmask_b32_e64 v37, v125, v37, s[60:61]                 // 00000000A96C: D1000025 00F24B7D
	v_cndmask_b32_e64 v38, v125, v38, s[60:61]                 // 00000000A974: D1000026 00F24D7D
	v_cndmask_b32_e64 v39, v125, v39, s[60:61]                 // 00000000A97C: D1000027 00F24F7D
	s_branch label_1A8A                                        // 00000000A984: BF820005

000000000000a988 <label_1A85>:
	v_mov_b32_e32 v36, v125                                    // 00000000A988: 7E48037D
	v_mov_b32_e32 v37, v125                                    // 00000000A98C: 7E4A037D
	v_mov_b32_e32 v38, v125                                    // 00000000A990: 7E4C037D
	v_mov_b32_e32 v39, v125                                    // 00000000A994: 7E4E037D
	s_branch label_1A8A                                        // 00000000A998: BF820000

000000000000a99c <label_1A8A>:
	s_addk_i32 s74, 0x1                                        // 00000000A99C: B74A0001
	s_waitcnt lgkmcnt(8)                                       // 00000000A9A0: BF8CC87F
	v_mfma_f32_16x16x32_f16 v[56:59], v[72:75], a[48:51], 0    // 00000000A9A4: D3D40038 12026148
	v_exp_f32_e32 v24, v24                                     // 00000000A9AC: 7E304118
	v_exp_f32_e32 v25, v25                                     // 00000000A9B0: 7E324119
	v_mfma_f32_16x16x32_f16 v[56:59], v[76:79], a[52:55], v[56:59]// 00000000A9B4: D3D40038 14E2694C
	v_exp_f32_e32 v26, v26                                     // 00000000A9BC: 7E34411A
	v_exp_f32_e32 v27, v27                                     // 00000000A9C0: 7E36411B
	v_mfma_f32_16x16x32_f16 v[56:59], v[80:83], a[56:59], v[56:59]// 00000000A9C4: D3D40038 14E27150
	v_fma_f32 v36, v36, s57, -v104                             // 00000000A9CC: D1CB0024 85A07324
	v_fma_f32 v37, v37, s57, -v105                             // 00000000A9D4: D1CB0025 85A47325
	v_exp_f32_e32 v28, v28                                     // 00000000A9DC: 7E38411C
	v_exp_f32_e32 v29, v29                                     // 00000000A9E0: 7E3A411D
	v_mfma_f32_16x16x32_f16 v[56:59], v[84:87], a[60:63], v[56:59]// 00000000A9E4: D3D40038 14E27954
	ds_read_b64_tr_b16 a[112:113], v10 offset:8192             // 00000000A9EC: DBC62000 7000000A
	ds_read_b64_tr_b16 a[114:115], v10 offset:8448             // 00000000A9F4: DBC62100 7200000A
	v_mfma_f32_16x16x32_f16 v[60:63], v[72:75], a[64:67], 0    // 00000000A9FC: D3D4003C 12028148
	v_fma_f32 v38, v38, s57, -v106                             // 00000000AA04: D1CB0026 85A87326
	v_fma_f32 v39, v39, s57, -v107                             // 00000000AA0C: D1CB0027 85AC7327
	v_exp_f32_e32 v30, v30                                     // 00000000AA14: 7E3C411E
	v_exp_f32_e32 v31, v31                                     // 00000000AA18: 7E3E411F
	v_mfma_f32_16x16x32_f16 v[60:63], v[76:79], a[68:71], v[60:63]// 00000000AA1C: D3D4003C 14F2894C
	ds_read_b64_tr_b16 a[116:117], v10 offset:9216             // 00000000AA24: DBC62400 7400000A
	ds_read_b64_tr_b16 a[118:119], v10 offset:9472             // 00000000AA2C: DBC62500 7600000A
	v_mfma_f32_16x16x32_f16 v[60:63], v[80:83], a[72:75], v[60:63]// 00000000AA34: D3D4003C 14F29150
	v_exp_f32_e32 v32, v32                                     // 00000000AA3C: 7E404120
	v_exp_f32_e32 v33, v33                                     // 00000000AA40: 7E424121
	v_mfma_f32_16x16x32_f16 v[60:63], v[84:87], a[76:79], v[60:63]// 00000000AA44: D3D4003C 14F29954
	v_cvt_pk_f16_f32 v116, v24, v25                            // 00000000AA4C: D2670074 00023318
	v_cvt_pk_f16_f32 v117, v26, v27                            // 00000000AA54: D2670075 0002371A
	v_exp_f32_e32 v34, v34                                     // 00000000AA5C: 7E444122
	v_mfma_f32_16x16x32_f16 v[64:67], v[72:75], a[80:83], 0    // 00000000AA60: D3D40040 1202A148
	v_exp_f32_e32 v35, v35                                     // 00000000AA68: 7E464123
	v_exp_f32_e32 v36, v36                                     // 00000000AA6C: 7E484124
	v_mfma_f32_16x16x32_f16 v[64:67], v[76:79], a[84:87], v[64:67]// 00000000AA70: D3D40040 1502A94C
	v_cvt_pk_f16_f32 v118, v28, v29                            // 00000000AA78: D2670076 00023B1C
	v_cvt_pk_f16_f32 v119, v30, v31                            // 00000000AA80: D2670077 00023F1E
	v_exp_f32_e32 v37, v37                                     // 00000000AA88: 7E4A4125
	v_mfma_f32_16x16x32_f16 v[64:67], v[80:83], a[88:91], v[64:67]// 00000000AA8C: D3D40040 1502B150
	v_exp_f32_e32 v38, v38                                     // 00000000AA94: 7E4C4126
	v_exp_f32_e32 v39, v39                                     // 00000000AA98: 7E4E4127
	v_permlane16_swap_b32_e32 v116, v118                       // 00000000AA9C: 7EE8B376
	v_mfma_f32_16x16x32_f16 v[64:67], v[84:87], a[92:95], v[64:67]// 00000000AAA0: D3D40040 1502B954
	ds_read_b64_tr_b16 a[120:121], v10 offset:10240            // 00000000AAA8: DBC62800 7800000A
	ds_read_b64_tr_b16 a[122:123], v10 offset:10496            // 00000000AAB0: DBC62900 7A00000A
	v_mfma_f32_16x16x32_f16 v[68:71], v[72:75], a[96:99], 0    // 00000000AAB8: D3D40044 1202C148
	v_cvt_pk_f16_f32 v120, v32, v33                            // 00000000AAC0: D2670078 00024320
	v_cvt_pk_f16_f32 v121, v34, v35                            // 00000000AAC8: D2670079 00024722
	v_cvt_pk_f16_f32 v122, v36, v37                            // 00000000AAD0: D267007A 00024B24
	v_cvt_pk_f16_f32 v123, v38, v39                            // 00000000AAD8: D267007B 00024F26
	v_permlane16_swap_b32_e32 v117, v119                       // 00000000AAE0: 7EEAB377
	v_mfma_f32_16x16x32_f16 v[68:71], v[76:79], a[100:103], v[68:71]// 00000000AAE4: D3D40044 1512C94C
	ds_read_b64_tr_b16 a[124:125], v10 offset:11264            // 00000000AAEC: DBC62C00 7C00000A
	ds_read_b64_tr_b16 a[126:127], v10 offset:11520            // 00000000AAF4: DBC62D00 7E00000A
	v_mfma_f32_16x16x32_f16 v[68:71], v[80:83], a[104:107], v[68:71]// 00000000AAFC: D3D40044 1512D150
	v_permlane16_swap_b32_e32 v120, v122                       // 00000000AB04: 7EF0B37A
	v_mfma_f32_16x16x32_f16 v[68:71], v[84:87], a[108:111], v[68:71]// 00000000AB08: D3D40044 1512D954
	v_permlane16_swap_b32_e32 v121, v123                       // 00000000AB10: 7EF2B37B
	s_waitcnt lgkmcnt(8)                                       // 00000000AB14: BF8CC87F
	v_mfma_f32_32x32x16_f16 v[126:141], v[88:91], v[116:119], v[126:141]// 00000000AB18: D3D5007E 05FAE958
	v_subrev_f32_dpp v56, v124, v56 quad_perm:[0,0,0,0] row_mask:0xf bank_mask:0xf// 00000000AB20: 067070FA FF00007C
	v_subrev_f32_dpp v57, v124, v57 quad_perm:[1,1,1,1] row_mask:0xf bank_mask:0xf// 00000000AB28: 067272FA FF00557C
	v_subrev_f32_dpp v58, v124, v58 quad_perm:[2,2,2,2] row_mask:0xf bank_mask:0xf// 00000000AB30: 067474FA FF00AA7C
	v_subrev_f32_dpp v59, v124, v59 quad_perm:[3,3,3,3] row_mask:0xf bank_mask:0xf// 00000000AB38: 067676FA FF00FF7C
	v_subrev_f32_dpp v60, v124, v60 quad_perm:[0,0,0,0] row_mask:0xf bank_mask:0xf// 00000000AB40: 067878FA FF00007C
	v_subrev_f32_dpp v61, v124, v61 quad_perm:[1,1,1,1] row_mask:0xf bank_mask:0xf// 00000000AB48: 067A7AFA FF00557C
	v_subrev_f32_dpp v62, v124, v62 quad_perm:[2,2,2,2] row_mask:0xf bank_mask:0xf// 00000000AB50: 067C7CFA FF00AA7C
	v_subrev_f32_dpp v63, v124, v63 quad_perm:[3,3,3,3] row_mask:0xf bank_mask:0xf// 00000000AB58: 067E7EFA FF00FF7C
	v_mul_f32_e32 v56, v24, v56                                // 00000000AB60: 0A707118
	v_mul_f32_e32 v57, v25, v57                                // 00000000AB64: 0A727319
	v_mfma_f32_32x32x16_f16 v[142:157], v[92:95], v[116:119], v[142:157]// 00000000AB68: D3D5008E 063AE95C
	ds_read_b64_tr_b16 a[0:1], v15                             // 00000000AB70: DBC60000 0000000F
	ds_read_b64_tr_b16 a[2:3], v15 offset:256                  // 00000000AB78: DBC60100 0200000F
	ds_read_b64_tr_b16 a[4:5], v16                             // 00000000AB80: DBC60000 04000010
	ds_read_b64_tr_b16 a[6:7], v16 offset:256                  // 00000000AB88: DBC60100 06000010
	buffer_atomic_add_f32 v110, v6, s[32:35], 0 offen          // 00000000AB90: E1341000 80086E06
	v_mfma_f32_32x32x16_f16 v[158:173], v[96:99], v[116:119], v[158:173]// 00000000AB98: D3D5009E 067AE960
	v_mul_f32_e32 v58, v26, v58                                // 00000000ABA0: 0A74751A
	v_mul_f32_e32 v59, v27, v59                                // 00000000ABA4: 0A76771B
	v_mul_f32_e32 v60, v28, v60                                // 00000000ABA8: 0A78791C
	v_mul_f32_e32 v61, v29, v61                                // 00000000ABAC: 0A7A7B1D
	v_mul_f32_e32 v62, v30, v62                                // 00000000ABB0: 0A7C7D1E
	v_mul_f32_e32 v63, v31, v63                                // 00000000ABB4: 0A7E7F1F
	v_cvt_pk_f16_f32 v56, v56, v57                             // 00000000ABB8: D2670038 00027338
	v_cvt_pk_f16_f32 v57, v58, v59                             // 00000000ABC0: D2670039 0002773A
	v_cvt_pk_f16_f32 v58, v60, v61                             // 00000000ABC8: D267003A 00027B3C
	v_cvt_pk_f16_f32 v59, v62, v63                             // 00000000ABD0: D267003B 00027F3E
	v_subrev_f32_dpp v64, v124, v64 quad_perm:[0,0,0,0] row_mask:0xf bank_mask:0xf// 00000000ABD8: 068080FA FF00007C
	v_subrev_f32_dpp v65, v124, v65 quad_perm:[1,1,1,1] row_mask:0xf bank_mask:0xf// 00000000ABE0: 068282FA FF00557C
	v_subrev_f32_dpp v66, v124, v66 quad_perm:[2,2,2,2] row_mask:0xf bank_mask:0xf// 00000000ABE8: 068484FA FF00AA7C
	v_subrev_f32_dpp v67, v124, v67 quad_perm:[3,3,3,3] row_mask:0xf bank_mask:0xf// 00000000ABF0: 068686FA FF00FF7C
	v_mfma_f32_32x32x16_f16 v[174:189], v[100:103], v[116:119], v[174:189]// 00000000ABF8: D3D500AE 06BAE964
	ds_read_b64_tr_b16 a[8:9], v15 offset:8192                 // 00000000AC00: DBC62000 0800000F
	ds_read_b64_tr_b16 a[10:11], v15 offset:8448               // 00000000AC08: DBC62100 0A00000F
	ds_read_b64_tr_b16 a[12:13], v16 offset:8192               // 00000000AC10: DBC62000 0C000010
	ds_read_b64_tr_b16 a[14:15], v16 offset:8448               // 00000000AC18: DBC62100 0E000010
	v_mfma_f32_32x32x16_f16 v[190:205], v[88:91], v[120:123], v[190:205]// 00000000AC20: D3D500BE 06FAF158
	v_subrev_f32_dpp v68, v124, v68 quad_perm:[0,0,0,0] row_mask:0xf bank_mask:0xf// 00000000AC28: 068888FA FF00007C
	v_subrev_f32_dpp v69, v124, v69 quad_perm:[1,1,1,1] row_mask:0xf bank_mask:0xf// 00000000AC30: 068A8AFA FF00557C
	v_subrev_f32_dpp v70, v124, v70 quad_perm:[2,2,2,2] row_mask:0xf bank_mask:0xf// 00000000AC38: 068C8CFA FF00AA7C
	v_subrev_f32_dpp v71, v124, v71 quad_perm:[3,3,3,3] row_mask:0xf bank_mask:0xf// 00000000AC40: 068E8EFA FF00FF7C
	v_mul_f32_e32 v64, v32, v64                                // 00000000AC48: 0A808120
	v_mul_f32_e32 v65, v33, v65                                // 00000000AC4C: 0A828321
	v_mul_f32_e32 v66, v34, v66                                // 00000000AC50: 0A848522
	v_mul_f32_e32 v67, v35, v67                                // 00000000AC54: 0A868723
	v_mul_f32_e32 v68, v36, v68                                // 00000000AC58: 0A888924
	v_mul_f32_e32 v69, v37, v69                                // 00000000AC5C: 0A8A8B25
	v_mul_f32_e32 v70, v38, v70                                // 00000000AC60: 0A8C8D26
	v_mul_f32_e32 v71, v39, v71                                // 00000000AC64: 0A8E8F27
	v_cvt_pk_f16_f32 v60, v64, v65                             // 00000000AC68: D267003C 00028340
	v_cvt_pk_f16_f32 v61, v66, v67                             // 00000000AC70: D267003D 00028742
	v_cvt_pk_f16_f32 v62, v68, v69                             // 00000000AC78: D267003E 00028B44
	v_cvt_pk_f16_f32 v63, v70, v71                             // 00000000AC80: D267003F 00028F46
	v_mfma_f32_32x32x16_f16 v[206:221], v[92:95], v[120:123], v[206:221]// 00000000AC88: D3D500CE 073AF15C
	ds_read_b64_tr_b16 a[16:17], v15 offset:16384              // 00000000AC90: DBC64000 1000000F
	ds_read_b64_tr_b16 a[18:19], v15 offset:16640              // 00000000AC98: DBC64100 1200000F
	ds_write_b64 v12, v[56:57] offset:32768                    // 00000000ACA0: D89A8000 0000380C
	ds_write_b64 v12, v[58:59] offset:35072                    // 00000000ACA8: D89A8900 00003A0C
	buffer_atomic_add_f32 v111, v7, s[32:35], 0 offen          // 00000000ACB0: E1341000 80086F07
	v_mfma_f32_32x32x16_f16 v[222:237], v[96:99], v[120:123], v[222:237]// 00000000ACB8: D3D500DE 077AF160
	v_permlane16_swap_b32_e32 v56, v58                         // 00000000ACC0: 7E70B33A
	v_permlane16_swap_b32_e32 v57, v59                         // 00000000ACC4: 7E72B33B
	s_nop 1                                                    // 00000000ACC8: BF800001
	v_mfma_f32_32x32x16_f16 v[238:253], v[100:103], v[120:123], v[238:253]// 00000000ACCC: D3D500EE 07BAF164
	ds_read_b32 v104, v13 offset:43520                         // 00000000ACD4: D86CAA00 6800000D
	ds_read_b32 v124, v13 offset:43776                         // 00000000ACDC: D86CAB00 7C00000D
	ds_write_b64 v12, v[60:61] offset:37376                    // 00000000ACE4: D89A9200 00003C0C
	ds_write_b64 v12, v[62:63] offset:39680                    // 00000000ACEC: D89A9B00 00003E0C
	s_waitcnt lgkmcnt(12)                                      // 00000000ACF4: BF8CCC7F
	v_mfma_f32_32x32x16_f16 a[128:143], a[112:115], v[56:59], a[128:143]// 00000000ACF8: D3D58080 0E027170
	v_permlane16_swap_b32_e32 v60, v62                         // 00000000AD00: 7E78B33E
	buffer_atomic_add_f32 v112, v4, s[32:35], 0 offen offset:64// 00000000AD04: E1341040 80087004
	v_mfma_f32_32x32x16_f16 a[144:159], a[116:119], v[56:59], a[144:159]// 00000000AD0C: D3D58090 0E427174
	ds_read_b64_tr_b16 a[20:21], v16 offset:16384              // 00000000AD14: DBC64000 14000010
	ds_read_b64_tr_b16 a[22:23], v16 offset:16640              // 00000000AD1C: DBC64100 16000010
	ds_read_b64_tr_b16 a[24:25], v15 offset:24576              // 00000000AD24: DBC66000 1800000F
	ds_read_b64_tr_b16 a[26:27], v15 offset:24832              // 00000000AD2C: DBC66100 1A00000F
	ds_read_b64_tr_b16 a[28:29], v16 offset:24576              // 00000000AD34: DBC66000 1C000010
	ds_read_b64_tr_b16 a[30:31], v16 offset:24832              // 00000000AD3C: DBC66100 1E000010
	ds_read_b64_tr_b16 a[32:33], v15 offset:32768              // 00000000AD44: DBC68000 2000000F
	ds_read_b64_tr_b16 a[34:35], v15 offset:33024              // 00000000AD4C: DBC68100 2200000F
	s_waitcnt lgkmcnt(8)                                       // 00000000AD54: BF8CC87F
	s_barrier                                                  // 00000000AD58: BF8A0000
	v_mfma_f32_32x32x16_f16 a[160:175], a[120:123], v[56:59], a[160:175]// 00000000AD5C: D3D580A0 0E827178
	v_permlane16_swap_b32_e32 v61, v63                         // 00000000AD64: 7E7AB33F
	v_mul_f32_e32 v104, s48, v104                              // 00000000AD68: 0AD0D030
	buffer_atomic_add_f32 v113, v5, s[32:35], 0 offen offset:64// 00000000AD6C: E1341040 80087105
	v_mfma_f32_32x32x16_f16 a[176:191], a[124:127], v[56:59], a[176:191]// 00000000AD74: D3D580B0 0EC2717C
	ds_read_b64_tr_b16 v[24:25], v11 offset:32768              // 00000000AD7C: D9C68000 1800000B
	ds_read_b64_tr_b16 v[26:27], v11 offset:32800              // 00000000AD84: D9C68020 1A00000B
	ds_read_b64_tr_b16 v[28:29], v11 offset:33920              // 00000000AD8C: D9C68480 1C00000B
	ds_read_b64_tr_b16 v[30:31], v11 offset:33952              // 00000000AD94: D9C684A0 1E00000B
	ds_read_b64_tr_b16 v[32:33], v11 offset:35072              // 00000000AD9C: D9C68900 2000000B
	ds_read_b64_tr_b16 v[34:35], v11 offset:35104              // 00000000ADA4: D9C68920 2200000B
	ds_read_b64_tr_b16 v[36:37], v11 offset:36224              // 00000000ADAC: D9C68D80 2400000B
	ds_read_b64_tr_b16 v[38:39], v11 offset:36256              // 00000000ADB4: D9C68DA0 2600000B
	v_mfma_f32_32x32x16_f16 a[192:207], a[112:115], v[60:63], a[192:207]// 00000000ADBC: D3D580C0 0F027970
	v_mov_b32_dpp v107, v104 quad_perm:[3,3,3,3] row_mask:0xf bank_mask:0xf// 00000000ADC4: 7ED602FA FF00FF68
	v_mov_b32_dpp v106, v104 quad_perm:[2,2,2,2] row_mask:0xf bank_mask:0xf// 00000000ADCC: 7ED402FA FF00AA68
	buffer_atomic_add_f32 v114, v6, s[32:35], 0 offen offset:64// 00000000ADD4: E1341040 80087206
	v_mfma_f32_32x32x16_f16 a[208:223], a[116:119], v[60:63], a[208:223]// 00000000ADDC: D3D580D0 0F427974
	ds_read_b64_tr_b16 v[40:41], v11 offset:37376              // 00000000ADE4: D9C69200 2800000B
	ds_read_b64_tr_b16 v[42:43], v11 offset:37408              // 00000000ADEC: D9C69220 2A00000B
	ds_read_b64_tr_b16 v[44:45], v11 offset:38528              // 00000000ADF4: D9C69680 2C00000B
	ds_read_b64_tr_b16 v[46:47], v11 offset:38560              // 00000000ADFC: D9C696A0 2E00000B
	ds_read_b64_tr_b16 a[36:37], v16 offset:32768              // 00000000AE04: DBC68000 24000010
	ds_read_b64_tr_b16 a[38:39], v16 offset:33024              // 00000000AE0C: DBC68100 26000010
	ds_read_b64_tr_b16 a[40:41], v15 offset:40960              // 00000000AE14: DBC6A000 2800000F
	ds_read_b64_tr_b16 a[42:43], v15 offset:41216              // 00000000AE1C: DBC6A100 2A00000F
	v_mfma_f32_32x32x16_f16 a[224:239], a[120:123], v[60:63], a[224:239]// 00000000AE24: D3D580E0 0F827978
	v_mov_b32_dpp v105, v104 quad_perm:[1,1,1,1] row_mask:0xf bank_mask:0xf// 00000000AE2C: 7ED202FA FF005568
	v_mov_b32_dpp v104, v104 quad_perm:[0,0,0,0] row_mask:0xf bank_mask:0xf// 00000000AE34: 7ED002FA FF000068
	buffer_atomic_add_f32 v115, v7, s[32:35], 0 offen offset:64// 00000000AE3C: E1341040 80087307
	v_mfma_f32_32x32x16_f16 a[240:255], a[124:127], v[60:63], a[240:255]// 00000000AE44: D3D580F0 0FC2797C
	ds_read_b64_tr_b16 v[48:49], v11 offset:39680              // 00000000AE4C: D9C69B00 3000000B
	ds_read_b64_tr_b16 v[50:51], v11 offset:39712              // 00000000AE54: D9C69B20 3200000B
	ds_read_b64_tr_b16 v[52:53], v11 offset:40832              // 00000000AE5C: D9C69F80 3400000B
	ds_read_b64_tr_b16 v[54:55], v11 offset:40864              // 00000000AE64: D9C69FA0 3600000B
	ds_read_b64_tr_b16 a[44:45], v16 offset:40960              // 00000000AE6C: DBC6A000 2C000010
	ds_read_b64_tr_b16 a[46:47], v16 offset:41216              // 00000000AE74: DBC6A100 2E000010
	s_waitcnt vmcnt(8) lgkmcnt(6)                              // 00000000AE7C: BF8C0678
	s_barrier                                                  // 00000000AE80: BF8A0000
	v_mfma_f32_16x16x32_f16 v[108:111], v[24:27], a[0:3], 0    // 00000000AE84: D3D4006C 12020118
	s_mov_b32 m0, s83                                          // 00000000AE8C: BEFC0053
	buffer_load_dwordx4 v1, s[8:11], 0 idxen lds               // 00000000AE90: E05D2000 80020001
	v_mfma_f32_16x16x32_f16 v[108:111], v[28:31], a[8:11], v[108:111]// 00000000AE98: D3D4006C 15B2111C
	ds_read_b64_tr_b16 v[56:57], v15 offset:49152              // 00000000AEA0: D9C6C000 3800000F
	ds_read_b64_tr_b16 v[58:59], v15 offset:49408              // 00000000AEA8: D9C6C100 3A00000F
	ds_read_b64_tr_b16 v[60:61], v16 offset:49152              // 00000000AEB0: D9C6C000 3C000010
	ds_read_b64_tr_b16 v[62:63], v16 offset:49408              // 00000000AEB8: D9C6C100 3E000010
	v_mfma_f32_16x16x32_f16 v[108:111], v[32:35], a[16:19], v[108:111]// 00000000AEC0: D3D4006C 15B22120
	s_mov_b32 m0, s87                                          // 00000000AEC8: BEFC0057
	buffer_load_dwordx4 v254, s[20:23], 0 idxen lds            // 00000000AECC: E05D2000 800500FE
	v_mfma_f32_16x16x32_f16 v[108:111], v[36:39], a[24:27], v[108:111]// 00000000AED4: D3D4006C 15B23124
	ds_read_b64_tr_b16 v[64:65], v15 offset:57344              // 00000000AEDC: D9C6E000 4000000F
	ds_read_b64_tr_b16 v[66:67], v15 offset:57600              // 00000000AEE4: D9C6E100 4200000F
	ds_read_b64_tr_b16 v[68:69], v16 offset:57344              // 00000000AEEC: D9C6E000 44000010
	ds_read_b64_tr_b16 v[70:71], v16 offset:57600              // 00000000AEF4: D9C6E100 46000010
	v_mfma_f32_16x16x32_f16 v[108:111], v[40:43], a[32:35], v[108:111]// 00000000AEFC: D3D4006C 15B24128
	s_mov_b32 m0, s79                                          // 00000000AF04: BEFC004F
	buffer_load_dword v8, s[24:27], 0 idxen lds                // 00000000AF08: E0512000 80060008
	v_mfma_f32_16x16x32_f16 v[108:111], v[44:47], a[40:43], v[108:111]// 00000000AF10: D3D4006C 15B2512C
	ds_read_b128 a[112:115], v9 offset:12288                   // 00000000AF18: DBFE3000 70000009
	ds_read_b128 a[116:119], v9 offset:13312                   // 00000000AF20: DBFE3400 74000009
	s_waitcnt lgkmcnt(4)                                       // 00000000AF28: BF8CC47F
	s_barrier                                                  // 00000000AF2C: BF8A0000
	v_mfma_f32_16x16x32_f16 v[108:111], v[48:51], v[56:59], v[108:111]// 00000000AF30: D3D4006C 05B27130
	s_add_u32 s60, 64, s59                                     // 00000000AF38: 803C3BC0
	s_cmp_lt_u32 s60, s58                                      // 00000000AF3C: BF0A3A3C
	s_cselect_b32 s68, s68, 0                                  // 00000000AF40: 85448044
	s_cselect_b32 s98, s98, 0                                  // 00000000AF44: 85628062
	s_cselect_b32 s69, s69, 0                                  // 00000000AF48: 85458045
	v_mfma_f32_16x16x32_f16 v[108:111], v[52:55], v[64:67], v[108:111]// 00000000AF4C: D3D4006C 05B28134
	ds_read_b128 a[120:123], v9 offset:14336                   // 00000000AF54: DBFE3800 78000009
	ds_read_b128 a[124:127], v9 offset:15360                   // 00000000AF5C: DBFE3C00 7C000009
	v_mfma_f32_16x16x32_f16 v[112:115], v[24:27], a[4:7], 0    // 00000000AF64: D3D40070 12020918
	v_add_u32_e32 v1, s68, v1                                  // 00000000AF6C: 68020244
	v_add_u32_e32 v254, s98, v254                              // 00000000AF70: 69FDFC62
	v_add_u32_e32 v8, s69, v8                                  // 00000000AF74: 68101045
	v_mfma_f32_16x16x32_f16 v[112:115], v[28:31], a[12:15], v[112:115]// 00000000AF78: D3D40070 15C2191C
	ds_read_b128 a[0:3], v14                                   // 00000000AF80: DBFE0000 0000000E
	ds_read_b128 a[4:7], v14 offset:1024                       // 00000000AF88: DBFE0400 0400000E
	v_mfma_f32_16x16x32_f16 v[112:115], v[32:35], a[20:23], v[112:115]// 00000000AF90: D3D40070 15C22920
	v_mul_f32_e32 v108, s47, v108                              // 00000000AF98: 0AD8D82F
	v_mul_f32_e32 v109, s47, v109                              // 00000000AF9C: 0ADADA2F
	v_mfma_f32_16x16x32_f16 v[112:115], v[36:39], a[28:31], v[112:115]// 00000000AFA0: D3D40070 15C23924
	ds_read_b128 a[8:11], v14 offset:2048                      // 00000000AFA8: DBFE0800 0800000E
	ds_read_b128 a[12:15], v14 offset:3072                     // 00000000AFB0: DBFE0C00 0C00000E
	v_mfma_f32_16x16x32_f16 v[112:115], v[40:43], a[36:39], v[112:115]// 00000000AFB8: D3D40070 15C24928
	v_mul_f32_e32 v110, s47, v110                              // 00000000AFC0: 0ADCDC2F
	s_cmp_ge_u32 s59, s73                                      // 00000000AFC4: BF09493B
	s_cselect_b32 s66, s67, s66                                // 00000000AFC8: 85424243
	v_mfma_f32_16x16x32_f16 v[112:115], v[44:47], a[44:47], v[112:115]// 00000000AFCC: D3D40070 15C2592C
	ds_read_b128 a[16:19], v14 offset:16384                    // 00000000AFD4: DBFE4000 1000000E
	ds_read_b128 a[20:23], v14 offset:17408                    // 00000000AFDC: DBFE4400 1400000E
	s_waitcnt lgkmcnt(10)                                      // 00000000AFE4: BF8CCA7F
	v_mfma_f32_16x16x32_f16 v[112:115], v[48:51], v[60:63], v[112:115]// 00000000AFE8: D3D40070 05C27930
	s_addk_i32 s59, 0x10                                       // 00000000AFF0: B73B0010
	v_mul_f32_e32 v111, s47, v111                              // 00000000AFF4: 0ADEDE2F
	s_cmp_lt_i32 s59, s58                                      // 00000000AFF8: BF043A3B
	v_mfma_f32_16x16x32_f16 v[112:115], v[52:55], v[68:71], v[112:115]// 00000000AFFC: D3D40070 05C28934
	ds_read_b128 a[24:27], v14 offset:18432                    // 00000000B004: DBFE4800 1800000E
	ds_read_b128 a[28:31], v14 offset:19456                    // 00000000B00C: DBFE4C00 1C00000E
	s_cbranch_scc0 label_12CC                                  // 00000000B014: BF84F6B2
	s_waitcnt lgkmcnt(2)                                       // 00000000B018: BF8CC27F
	v_mfma_f32_16x16x32_f16 v[24:27], a[112:115], a[0:3], 0    // 00000000B01C: D3D40018 1A020170
	v_add_u32_e32 v4, s66, v4                                  // 00000000B024: 68080842
	v_add_u32_e32 v5, s66, v5                                  // 00000000B028: 680A0A42
	v_add_u32_e32 v6, s66, v6                                  // 00000000B02C: 680C0C42
	v_add_u32_e32 v7, s66, v7                                  // 00000000B030: 680E0E42
	v_mfma_f32_16x16x32_f16 v[24:27], a[116:119], a[4:7], v[24:27]// 00000000B034: D3D40018 1C620974
	ds_read_b128 a[32:35], v14 offset:32768                    // 00000000B03C: DBFE8000 2000000E
	ds_read_b128 a[36:39], v14 offset:33792                    // 00000000B044: DBFE8400 2400000E
	v_mfma_f32_16x16x32_f16 v[24:27], a[120:123], a[8:11], v[24:27]// 00000000B04C: D3D40018 1C621178
	v_mul_f32_e32 v112, s47, v112                              // 00000000B054: 0AE0E02F
	v_mul_f32_e32 v113, s47, v113                              // 00000000B058: 0AE2E22F
	v_mfma_f32_16x16x32_f16 v[24:27], a[124:127], a[12:15], v[24:27]// 00000000B05C: D3D40018 1C62197C
	ds_read_b128 a[40:43], v14 offset:34816                    // 00000000B064: DBFE8800 2800000E
	ds_read_b128 a[44:47], v14 offset:35840                    // 00000000B06C: DBFE8C00 2C00000E
	v_mfma_f32_16x16x32_f16 v[28:31], a[112:115], a[16:19], 0  // 00000000B074: D3D4001C 1A022170
	v_mul_f32_e32 v114, s47, v114                              // 00000000B07C: 0AE4E42F
	v_mul_f32_e32 v115, s47, v115                              // 00000000B080: 0AE6E62F
	v_mfma_f32_16x16x32_f16 v[28:31], a[116:119], a[20:23], v[28:31]// 00000000B084: D3D4001C 1C722974
	ds_read_b128 v[56:59], v14 offset:49152                    // 00000000B08C: D9FEC000 3800000E
	ds_read_b128 v[60:63], v14 offset:50176                    // 00000000B094: D9FEC400 3C00000E
	s_waitcnt lgkmcnt(6)                                       // 00000000B09C: BF8CC67F
	v_mfma_f32_16x16x32_f16 v[28:31], a[120:123], a[24:27], v[28:31]// 00000000B0A0: D3D4001C 1C723178
	v_fma_f32 v24, v24, s57, -v104                             // 00000000B0A8: D1CB0018 85A07318
	v_fma_f32 v25, v25, s57, -v105                             // 00000000B0B0: D1CB0019 85A47319
	v_mfma_f32_16x16x32_f16 v[28:31], a[124:127], a[28:31], v[28:31]// 00000000B0B8: D3D4001C 1C72397C
	ds_read_b128 v[64:67], v14 offset:51200                    // 00000000B0C0: D9FEC800 4000000E
	ds_read_b128 v[68:71], v14 offset:52224                    // 00000000B0C8: D9FECC00 4400000E
	s_waitcnt lgkmcnt(6)                                       // 00000000B0D0: BF8CC67F
	v_mfma_f32_16x16x32_f16 v[32:35], a[112:115], a[32:35], 0  // 00000000B0D4: D3D40020 1A024170
	v_fma_f32 v26, v26, s57, -v106                             // 00000000B0DC: D1CB001A 85A8731A
	v_fma_f32 v27, v27, s57, -v107                             // 00000000B0E4: D1CB001B 85AC731B
	buffer_atomic_add_f32 v108, v4, s[32:35], 0 offen          // 00000000B0EC: E1341000 80086C04
	v_mfma_f32_16x16x32_f16 v[32:35], a[116:119], a[36:39], v[32:35]// 00000000B0F4: D3D40020 1C824974
	ds_read_b128 v[72:75], v9 offset:28672                     // 00000000B0FC: D9FE7000 48000009
	ds_read_b128 v[76:79], v9 offset:29696                     // 00000000B104: D9FE7400 4C000009
	s_waitcnt lgkmcnt(6)                                       // 00000000B10C: BF8CC67F
	v_mfma_f32_16x16x32_f16 v[32:35], a[120:123], a[40:43], v[32:35]// 00000000B110: D3D40020 1C825178
	v_fma_f32 v28, v28, s57, -v104                             // 00000000B118: D1CB001C 85A0731C
	v_fma_f32 v29, v29, s57, -v105                             // 00000000B120: D1CB001D 85A4731D
	v_mfma_f32_16x16x32_f16 v[32:35], a[124:127], a[44:47], v[32:35]// 00000000B128: D3D40020 1C82597C
	ds_read_b128 v[80:83], v9 offset:30720                     // 00000000B130: D9FE7800 50000009
	ds_read_b128 v[84:87], v9 offset:31744                     // 00000000B138: D9FE7C00 54000009
	s_waitcnt lgkmcnt(6)                                       // 00000000B140: BF8CC67F
	v_mfma_f32_16x16x32_f16 v[36:39], a[112:115], v[56:59], 0  // 00000000B144: D3D40024 0A027170
	v_fma_f32 v30, v30, s57, -v106                             // 00000000B14C: D1CB001E 85A8731E
	v_fma_f32 v31, v31, s57, -v107                             // 00000000B154: D1CB001F 85AC731F
	v_mfma_f32_16x16x32_f16 v[36:39], a[116:119], v[60:63], v[36:39]// 00000000B15C: D3D40024 0C927974
	ds_read_b64_tr_b16 v[88:89], v10 offset:28672              // 00000000B164: D9C67000 5800000A
	ds_read_b64_tr_b16 v[90:91], v10 offset:28928              // 00000000B16C: D9C67100 5A00000A
	ds_read_b64_tr_b16 v[92:93], v10 offset:29696              // 00000000B174: D9C67400 5C00000A
	ds_read_b64_tr_b16 v[94:95], v10 offset:29952              // 00000000B17C: D9C67500 5E00000A
	s_waitcnt lgkmcnt(8)                                       // 00000000B184: BF8CC87F
	v_mfma_f32_16x16x32_f16 v[36:39], a[120:123], v[64:67], v[36:39]// 00000000B188: D3D40024 0C928178
	v_fma_f32 v32, v32, s57, -v104                             // 00000000B190: D1CB0020 85A07320
	v_fma_f32 v33, v33, s57, -v105                             // 00000000B198: D1CB0021 85A47321
	v_fma_f32 v34, v34, s57, -v106                             // 00000000B1A0: D1CB0022 85A87322
	v_fma_f32 v35, v35, s57, -v107                             // 00000000B1A8: D1CB0023 85AC7323
	buffer_atomic_add_f32 v109, v5, s[32:35], 0 offen          // 00000000B1B0: E1341000 80086D05
	v_mfma_f32_16x16x32_f16 v[36:39], a[124:127], v[68:71], v[36:39]// 00000000B1B8: D3D40024 0C92897C
	ds_read_b64_tr_b16 v[96:97], v10 offset:30720              // 00000000B1C0: D9C67800 6000000A
	ds_read_b64_tr_b16 v[98:99], v10 offset:30976              // 00000000B1C8: D9C67900 6200000A
	ds_read_b64_tr_b16 v[100:101], v10 offset:31744            // 00000000B1D0: D9C67C00 6400000A
	ds_read_b64_tr_b16 v[102:103], v10 offset:32000            // 00000000B1D8: D9C67D00 6600000A
	s_cmp_lt_i32 s74, 16                                       // 00000000B1E0: BF04904A
	s_cbranch_scc0 label_1D37                                  // 00000000B1E4: BF84009A
	s_mov_b32 s60, 0xffe0fffe                                  // 00000000B1E8: BEBC00FF FFE0FFFE
	s_mov_b32 s61, 0xe000fe00                                  // 00000000B1F0: BEBD00FF E000FE00
	s_nop 0                                                    // 00000000B1F8: BF800000
	s_add_u32 s62, 0, s46                                      // 00000000B1FC: 803E2E80
	s_cmp_lt_i32 s74, s62                                      // 00000000B200: BF043E4A
	s_cbranch_scc1 label_1CD2                                  // 00000000B204: BF85002D
	s_cmp_eq_i32 s74, s62                                      // 00000000B208: BF003E4A
	s_cbranch_scc1 label_1CB7                                  // 00000000B20C: BF850010
	s_add_u32 s62, 4, s46                                      // 00000000B210: 803E2E84
	s_cmp_lt_i32 s74, s62                                      // 00000000B214: BF043E4A
	s_cbranch_scc1 label_1CF2                                  // 00000000B218: BF850048
	s_cmp_eq_i32 s74, s62                                      // 00000000B21C: BF003E4A
	s_cbranch_scc1 label_1CD7                                  // 00000000B220: BF85002B
	s_add_u32 s62, 8, s46                                      // 00000000B224: 803E2E88
	s_cmp_lt_i32 s74, s62                                      // 00000000B228: BF043E4A
	s_cbranch_scc1 label_1D12                                  // 00000000B22C: BF850063
	s_cmp_eq_i32 s74, s62                                      // 00000000B230: BF003E4A
	s_cbranch_scc1 label_1CF7                                  // 00000000B234: BF850046
	s_add_u32 s62, 12, s46                                     // 00000000B238: 803E2E8C
	s_cmp_lt_i32 s74, s62                                      // 00000000B23C: BF043E4A
	s_cbranch_scc1 label_1D32                                  // 00000000B240: BF85007E
	s_cmp_eq_i32 s74, s62                                      // 00000000B244: BF003E4A
	s_cbranch_scc1 label_1D17                                  // 00000000B248: BF850061
	s_branch label_1D37                                        // 00000000B24C: BF820080

000000000000b250 <label_1CB7>:
	v_cndmask_b32_e64 v24, v24, v125, s[60:61]                 // 00000000B250: D1000018 00F2FB18
	s_lshl_b32 s60, s60, 1                                     // 00000000B258: 8E3C813C
	s_lshl_b32 s61, s61, 1                                     // 00000000B25C: 8E3D813D
	s_and_b32 s60, 0xfffeffff, s60                             // 00000000B260: 863C3CFF FFFEFFFF
	s_and_b32 s61, 0xfffeffff, s61                             // 00000000B268: 863D3DFF FFFEFFFF
	v_cndmask_b32_e64 v25, v25, v125, s[60:61]                 // 00000000B270: D1000019 00F2FB19
	s_lshl_b32 s60, s60, 1                                     // 00000000B278: 8E3C813C
	s_lshl_b32 s61, s61, 1                                     // 00000000B27C: 8E3D813D
	s_and_b32 s60, 0xfffeffff, s60                             // 00000000B280: 863C3CFF FFFEFFFF
	s_and_b32 s61, 0xfffeffff, s61                             // 00000000B288: 863D3DFF FFFEFFFF
	v_cndmask_b32_e64 v26, v26, v125, s[60:61]                 // 00000000B290: D100001A 00F2FB1A
	s_lshl_b32 s60, s60, 1                                     // 00000000B298: 8E3C813C
	s_lshl_b32 s61, s61, 1                                     // 00000000B29C: 8E3D813D
	s_and_b32 s60, 0xfffeffff, s60                             // 00000000B2A0: 863C3CFF FFFEFFFF
	s_and_b32 s61, 0xfffeffff, s61                             // 00000000B2A8: 863D3DFF FFFEFFFF
	v_cndmask_b32_e64 v27, v27, v125, s[60:61]                 // 00000000B2B0: D100001B 00F2FB1B
	s_branch label_1CF2                                        // 00000000B2B8: BF820020

000000000000b2bc <label_1CD2>:
	v_mov_b32_e32 v24, v125                                    // 00000000B2BC: 7E30037D
	v_mov_b32_e32 v25, v125                                    // 00000000B2C0: 7E32037D
	v_mov_b32_e32 v26, v125                                    // 00000000B2C4: 7E34037D
	v_mov_b32_e32 v27, v125                                    // 00000000B2C8: 7E36037D
	s_branch label_1CF2                                        // 00000000B2CC: BF82001B

000000000000b2d0 <label_1CD7>:
	v_cndmask_b32_e64 v28, v28, v125, s[60:61]                 // 00000000B2D0: D100001C 00F2FB1C
	s_lshl_b32 s60, s60, 1                                     // 00000000B2D8: 8E3C813C
	s_lshl_b32 s61, s61, 1                                     // 00000000B2DC: 8E3D813D
	s_and_b32 s60, 0xfffeffff, s60                             // 00000000B2E0: 863C3CFF FFFEFFFF
	s_and_b32 s61, 0xfffeffff, s61                             // 00000000B2E8: 863D3DFF FFFEFFFF
	v_cndmask_b32_e64 v29, v29, v125, s[60:61]                 // 00000000B2F0: D100001D 00F2FB1D
	s_lshl_b32 s60, s60, 1                                     // 00000000B2F8: 8E3C813C
	s_lshl_b32 s61, s61, 1                                     // 00000000B2FC: 8E3D813D
	s_and_b32 s60, 0xfffeffff, s60                             // 00000000B300: 863C3CFF FFFEFFFF
	s_and_b32 s61, 0xfffeffff, s61                             // 00000000B308: 863D3DFF FFFEFFFF
	v_cndmask_b32_e64 v30, v30, v125, s[60:61]                 // 00000000B310: D100001E 00F2FB1E
	s_lshl_b32 s60, s60, 1                                     // 00000000B318: 8E3C813C
	s_lshl_b32 s61, s61, 1                                     // 00000000B31C: 8E3D813D
	s_and_b32 s60, 0xfffeffff, s60                             // 00000000B320: 863C3CFF FFFEFFFF
	s_and_b32 s61, 0xfffeffff, s61                             // 00000000B328: 863D3DFF FFFEFFFF
	v_cndmask_b32_e64 v31, v31, v125, s[60:61]                 // 00000000B330: D100001F 00F2FB1F
	s_branch label_1D12                                        // 00000000B338: BF820020

000000000000b33c <label_1CF2>:
	v_mov_b32_e32 v28, v125                                    // 00000000B33C: 7E38037D
	v_mov_b32_e32 v29, v125                                    // 00000000B340: 7E3A037D
	v_mov_b32_e32 v30, v125                                    // 00000000B344: 7E3C037D
	v_mov_b32_e32 v31, v125                                    // 00000000B348: 7E3E037D
	s_branch label_1D12                                        // 00000000B34C: BF82001B

000000000000b350 <label_1CF7>:
	v_cndmask_b32_e64 v32, v32, v125, s[60:61]                 // 00000000B350: D1000020 00F2FB20
	s_lshl_b32 s60, s60, 1                                     // 00000000B358: 8E3C813C
	s_lshl_b32 s61, s61, 1                                     // 00000000B35C: 8E3D813D
	s_and_b32 s60, 0xfffeffff, s60                             // 00000000B360: 863C3CFF FFFEFFFF
	s_and_b32 s61, 0xfffeffff, s61                             // 00000000B368: 863D3DFF FFFEFFFF
	v_cndmask_b32_e64 v33, v33, v125, s[60:61]                 // 00000000B370: D1000021 00F2FB21
	s_lshl_b32 s60, s60, 1                                     // 00000000B378: 8E3C813C
	s_lshl_b32 s61, s61, 1                                     // 00000000B37C: 8E3D813D
	s_and_b32 s60, 0xfffeffff, s60                             // 00000000B380: 863C3CFF FFFEFFFF
	s_and_b32 s61, 0xfffeffff, s61                             // 00000000B388: 863D3DFF FFFEFFFF
	v_cndmask_b32_e64 v34, v34, v125, s[60:61]                 // 00000000B390: D1000022 00F2FB22
	s_lshl_b32 s60, s60, 1                                     // 00000000B398: 8E3C813C
	s_lshl_b32 s61, s61, 1                                     // 00000000B39C: 8E3D813D
	s_and_b32 s60, 0xfffeffff, s60                             // 00000000B3A0: 863C3CFF FFFEFFFF
	s_and_b32 s61, 0xfffeffff, s61                             // 00000000B3A8: 863D3DFF FFFEFFFF
	v_cndmask_b32_e64 v35, v35, v125, s[60:61]                 // 00000000B3B0: D1000023 00F2FB23
	s_branch label_1D32                                        // 00000000B3B8: BF820020

000000000000b3bc <label_1D12>:
	v_mov_b32_e32 v32, v125                                    // 00000000B3BC: 7E40037D
	v_mov_b32_e32 v33, v125                                    // 00000000B3C0: 7E42037D
	v_mov_b32_e32 v34, v125                                    // 00000000B3C4: 7E44037D
	v_mov_b32_e32 v35, v125                                    // 00000000B3C8: 7E46037D
	s_branch label_1D32                                        // 00000000B3CC: BF82001B

000000000000b3d0 <label_1D17>:
	v_cndmask_b32_e64 v36, v36, v125, s[60:61]                 // 00000000B3D0: D1000024 00F2FB24
	s_lshl_b32 s60, s60, 1                                     // 00000000B3D8: 8E3C813C
	s_lshl_b32 s61, s61, 1                                     // 00000000B3DC: 8E3D813D
	s_and_b32 s60, 0xfffeffff, s60                             // 00000000B3E0: 863C3CFF FFFEFFFF
	s_and_b32 s61, 0xfffeffff, s61                             // 00000000B3E8: 863D3DFF FFFEFFFF
	v_cndmask_b32_e64 v37, v37, v125, s[60:61]                 // 00000000B3F0: D1000025 00F2FB25
	s_lshl_b32 s60, s60, 1                                     // 00000000B3F8: 8E3C813C
	s_lshl_b32 s61, s61, 1                                     // 00000000B3FC: 8E3D813D
	s_and_b32 s60, 0xfffeffff, s60                             // 00000000B400: 863C3CFF FFFEFFFF
	s_and_b32 s61, 0xfffeffff, s61                             // 00000000B408: 863D3DFF FFFEFFFF
	v_cndmask_b32_e64 v38, v38, v125, s[60:61]                 // 00000000B410: D1000026 00F2FB26
	s_lshl_b32 s60, s60, 1                                     // 00000000B418: 8E3C813C
	s_lshl_b32 s61, s61, 1                                     // 00000000B41C: 8E3D813D
	s_and_b32 s60, 0xfffeffff, s60                             // 00000000B420: 863C3CFF FFFEFFFF
	s_and_b32 s61, 0xfffeffff, s61                             // 00000000B428: 863D3DFF FFFEFFFF
	v_cndmask_b32_e64 v39, v39, v125, s[60:61]                 // 00000000B430: D1000027 00F2FB27
	s_branch label_1D37                                        // 00000000B438: BF820005

000000000000b43c <label_1D32>:
	v_mov_b32_e32 v36, v125                                    // 00000000B43C: 7E48037D
	v_mov_b32_e32 v37, v125                                    // 00000000B440: 7E4A037D
	v_mov_b32_e32 v38, v125                                    // 00000000B444: 7E4C037D
	v_mov_b32_e32 v39, v125                                    // 00000000B448: 7E4E037D
	s_branch label_1D37                                        // 00000000B44C: BF820000

000000000000b450 <label_1D37>:
	s_cmp_lt_i32 s99, 0x100                                    // 00000000B450: BF04FF63 00000100
	s_cbranch_scc0 label_1DA8                                  // 00000000B458: BF840069
	s_cmp_le_i32 s99, 64                                       // 00000000B45C: BF05C063
	s_cbranch_scc1 label_1D46                                  // 00000000B460: BF85000A
	s_cmp_le_i32 s99, 0x80                                     // 00000000B464: BF05FF63 00000080
	s_cbranch_scc1 label_1D5E                                  // 00000000B46C: BF85001A
	s_cmp_lt_i32 s99, 0xc0                                     // 00000000B470: BF04FF63 000000C0
	s_cbranch_scc1 label_1D76                                  // 00000000B478: BF85002F
	s_cmp_lt_i32 s99, 0x100                                    // 00000000B47C: BF04FF63 00000100
	s_cbranch_scc1 label_1D8F                                  // 00000000B484: BF850045
	s_branch label_1DA8                                        // 00000000B488: BF82005D

000000000000b48c <label_1D46>:
	s_mov_b32 s60, 0                                           // 00000000B48C: BEBC0080
	v_and_b32_e32 v20, 15, v0                                  // 00000000B490: 2628008F
	v_add_u32_e64 v20, v20, s60                                // 00000000B494: D1340014 00007914
	v_mul_i32_i24_e64 v21, s46, 16                             // 00000000B49C: D1060015 0001202E
	v_add_u32_e32 v20, v20, v21                                // 00000000B4A4: 68282B14
	v_cmp_lt_u32_e64 s[60:61], v20, s99                        // 00000000B4A8: D0C9003C 0000C714
	s_nop 1                                                    // 00000000B4B0: BF800001
	v_cndmask_b32_e64 v24, v125, v24, s[60:61]                 // 00000000B4B4: D1000018 00F2317D
	v_cndmask_b32_e64 v25, v125, v25, s[60:61]                 // 00000000B4BC: D1000019 00F2337D
	v_cndmask_b32_e64 v26, v125, v26, s[60:61]                 // 00000000B4C4: D100001A 00F2357D
	v_cndmask_b32_e64 v27, v125, v27, s[60:61]                 // 00000000B4CC: D100001B 00F2377D
	s_branch label_1D71                                        // 00000000B4D4: BF820013

000000000000b4d8 <label_1D5E>:
	s_mov_b32 s60, 64                                          // 00000000B4D8: BEBC00C0
	v_and_b32_e32 v20, 15, v0                                  // 00000000B4DC: 2628008F
	v_add_u32_e64 v20, v20, s60                                // 00000000B4E0: D1340014 00007914
	v_mul_i32_i24_e64 v21, s46, 16                             // 00000000B4E8: D1060015 0001202E
	v_add_u32_e32 v20, v20, v21                                // 00000000B4F0: 68282B14
	v_cmp_lt_u32_e64 s[60:61], v20, s99                        // 00000000B4F4: D0C9003C 0000C714
	s_nop 1                                                    // 00000000B4FC: BF800001
	v_cndmask_b32_e64 v28, v125, v28, s[60:61]                 // 00000000B500: D100001C 00F2397D
	v_cndmask_b32_e64 v29, v125, v29, s[60:61]                 // 00000000B508: D100001D 00F23B7D
	v_cndmask_b32_e64 v30, v125, v30, s[60:61]                 // 00000000B510: D100001E 00F23D7D
	v_cndmask_b32_e64 v31, v125, v31, s[60:61]                 // 00000000B518: D100001F 00F23F7D
	s_branch label_1D8A                                        // 00000000B520: BF820019

000000000000b524 <label_1D71>:
	v_mov_b32_e32 v28, v125                                    // 00000000B524: 7E38037D
	v_mov_b32_e32 v29, v125                                    // 00000000B528: 7E3A037D
	v_mov_b32_e32 v30, v125                                    // 00000000B52C: 7E3C037D
	v_mov_b32_e32 v31, v125                                    // 00000000B530: 7E3E037D
	s_branch label_1D8A                                        // 00000000B534: BF820014

000000000000b538 <label_1D76>:
	s_mov_b32 s60, 0x80                                        // 00000000B538: BEBC00FF 00000080
	v_and_b32_e32 v20, 15, v0                                  // 00000000B540: 2628008F
	v_add_u32_e64 v20, v20, s60                                // 00000000B544: D1340014 00007914
	v_mul_i32_i24_e64 v21, s46, 16                             // 00000000B54C: D1060015 0001202E
	v_add_u32_e32 v20, v20, v21                                // 00000000B554: 68282B14
	v_cmp_lt_u32_e64 s[60:61], v20, s99                        // 00000000B558: D0C9003C 0000C714
	s_nop 1                                                    // 00000000B560: BF800001
	v_cndmask_b32_e64 v32, v125, v32, s[60:61]                 // 00000000B564: D1000020 00F2417D
	v_cndmask_b32_e64 v33, v125, v33, s[60:61]                 // 00000000B56C: D1000021 00F2437D
	v_cndmask_b32_e64 v34, v125, v34, s[60:61]                 // 00000000B574: D1000022 00F2457D
	v_cndmask_b32_e64 v35, v125, v35, s[60:61]                 // 00000000B57C: D1000023 00F2477D
	s_branch label_1DA3                                        // 00000000B584: BF820019

000000000000b588 <label_1D8A>:
	v_mov_b32_e32 v32, v125                                    // 00000000B588: 7E40037D
	v_mov_b32_e32 v33, v125                                    // 00000000B58C: 7E42037D
	v_mov_b32_e32 v34, v125                                    // 00000000B590: 7E44037D
	v_mov_b32_e32 v35, v125                                    // 00000000B594: 7E46037D
	s_branch label_1DA3                                        // 00000000B598: BF820014

000000000000b59c <label_1D8F>:
	s_mov_b32 s60, 0xc0                                        // 00000000B59C: BEBC00FF 000000C0
	v_and_b32_e32 v20, 15, v0                                  // 00000000B5A4: 2628008F
	v_add_u32_e64 v20, v20, s60                                // 00000000B5A8: D1340014 00007914
	v_mul_i32_i24_e64 v21, s46, 16                             // 00000000B5B0: D1060015 0001202E
	v_add_u32_e32 v20, v20, v21                                // 00000000B5B8: 68282B14
	v_cmp_lt_u32_e64 s[60:61], v20, s99                        // 00000000B5BC: D0C9003C 0000C714
	s_nop 1                                                    // 00000000B5C4: BF800001
	v_cndmask_b32_e64 v36, v125, v36, s[60:61]                 // 00000000B5C8: D1000024 00F2497D
	v_cndmask_b32_e64 v37, v125, v37, s[60:61]                 // 00000000B5D0: D1000025 00F24B7D
	v_cndmask_b32_e64 v38, v125, v38, s[60:61]                 // 00000000B5D8: D1000026 00F24D7D
	v_cndmask_b32_e64 v39, v125, v39, s[60:61]                 // 00000000B5E0: D1000027 00F24F7D
	s_branch label_1DA8                                        // 00000000B5E8: BF820005

000000000000b5ec <label_1DA3>:
	v_mov_b32_e32 v36, v125                                    // 00000000B5EC: 7E48037D
	v_mov_b32_e32 v37, v125                                    // 00000000B5F0: 7E4A037D
	v_mov_b32_e32 v38, v125                                    // 00000000B5F4: 7E4C037D
	v_mov_b32_e32 v39, v125                                    // 00000000B5F8: 7E4E037D
	s_branch label_1DA8                                        // 00000000B5FC: BF820000

000000000000b600 <label_1DA8>:
	s_addk_i32 s74, 0x1                                        // 00000000B600: B74A0001
	s_waitcnt lgkmcnt(8)                                       // 00000000B604: BF8CC87F
	v_mfma_f32_16x16x32_f16 v[56:59], v[72:75], a[48:51], 0    // 00000000B608: D3D40038 12026148
	v_exp_f32_e32 v24, v24                                     // 00000000B610: 7E304118
	v_exp_f32_e32 v25, v25                                     // 00000000B614: 7E324119
	v_mfma_f32_16x16x32_f16 v[56:59], v[76:79], a[52:55], v[56:59]// 00000000B618: D3D40038 14E2694C
	v_exp_f32_e32 v26, v26                                     // 00000000B620: 7E34411A
	v_exp_f32_e32 v27, v27                                     // 00000000B624: 7E36411B
	v_mfma_f32_16x16x32_f16 v[56:59], v[80:83], a[56:59], v[56:59]// 00000000B628: D3D40038 14E27150
	v_fma_f32 v36, v36, s57, -v104                             // 00000000B630: D1CB0024 85A07324
	v_fma_f32 v37, v37, s57, -v105                             // 00000000B638: D1CB0025 85A47325
	v_exp_f32_e32 v28, v28                                     // 00000000B640: 7E38411C
	v_exp_f32_e32 v29, v29                                     // 00000000B644: 7E3A411D
	v_mfma_f32_16x16x32_f16 v[56:59], v[84:87], a[60:63], v[56:59]// 00000000B648: D3D40038 14E27954
	ds_read_b64_tr_b16 a[112:113], v10 offset:12288            // 00000000B650: DBC63000 7000000A
	ds_read_b64_tr_b16 a[114:115], v10 offset:12544            // 00000000B658: DBC63100 7200000A
	v_mfma_f32_16x16x32_f16 v[60:63], v[72:75], a[64:67], 0    // 00000000B660: D3D4003C 12028148
	v_fma_f32 v38, v38, s57, -v106                             // 00000000B668: D1CB0026 85A87326
	v_fma_f32 v39, v39, s57, -v107                             // 00000000B670: D1CB0027 85AC7327
	v_exp_f32_e32 v30, v30                                     // 00000000B678: 7E3C411E
	v_exp_f32_e32 v31, v31                                     // 00000000B67C: 7E3E411F
	v_mfma_f32_16x16x32_f16 v[60:63], v[76:79], a[68:71], v[60:63]// 00000000B680: D3D4003C 14F2894C
	ds_read_b64_tr_b16 a[116:117], v10 offset:13312            // 00000000B688: DBC63400 7400000A
	ds_read_b64_tr_b16 a[118:119], v10 offset:13568            // 00000000B690: DBC63500 7600000A
	v_mfma_f32_16x16x32_f16 v[60:63], v[80:83], a[72:75], v[60:63]// 00000000B698: D3D4003C 14F29150
	v_exp_f32_e32 v32, v32                                     // 00000000B6A0: 7E404120
	v_exp_f32_e32 v33, v33                                     // 00000000B6A4: 7E424121
	v_mfma_f32_16x16x32_f16 v[60:63], v[84:87], a[76:79], v[60:63]// 00000000B6A8: D3D4003C 14F29954
	v_cvt_pk_f16_f32 v116, v24, v25                            // 00000000B6B0: D2670074 00023318
	v_cvt_pk_f16_f32 v117, v26, v27                            // 00000000B6B8: D2670075 0002371A
	v_exp_f32_e32 v34, v34                                     // 00000000B6C0: 7E444122
	v_mfma_f32_16x16x32_f16 v[64:67], v[72:75], a[80:83], 0    // 00000000B6C4: D3D40040 1202A148
	v_exp_f32_e32 v35, v35                                     // 00000000B6CC: 7E464123
	v_exp_f32_e32 v36, v36                                     // 00000000B6D0: 7E484124
	v_mfma_f32_16x16x32_f16 v[64:67], v[76:79], a[84:87], v[64:67]// 00000000B6D4: D3D40040 1502A94C
	v_cvt_pk_f16_f32 v118, v28, v29                            // 00000000B6DC: D2670076 00023B1C
	v_cvt_pk_f16_f32 v119, v30, v31                            // 00000000B6E4: D2670077 00023F1E
	v_exp_f32_e32 v37, v37                                     // 00000000B6EC: 7E4A4125
	v_mfma_f32_16x16x32_f16 v[64:67], v[80:83], a[88:91], v[64:67]// 00000000B6F0: D3D40040 1502B150
	v_exp_f32_e32 v38, v38                                     // 00000000B6F8: 7E4C4126
	v_exp_f32_e32 v39, v39                                     // 00000000B6FC: 7E4E4127
	v_permlane16_swap_b32_e32 v116, v118                       // 00000000B700: 7EE8B376
	v_mfma_f32_16x16x32_f16 v[64:67], v[84:87], a[92:95], v[64:67]// 00000000B704: D3D40040 1502B954
	ds_read_b64_tr_b16 a[120:121], v10 offset:14336            // 00000000B70C: DBC63800 7800000A
	ds_read_b64_tr_b16 a[122:123], v10 offset:14592            // 00000000B714: DBC63900 7A00000A
	v_mfma_f32_16x16x32_f16 v[68:71], v[72:75], a[96:99], 0    // 00000000B71C: D3D40044 1202C148
	v_cvt_pk_f16_f32 v120, v32, v33                            // 00000000B724: D2670078 00024320
	v_cvt_pk_f16_f32 v121, v34, v35                            // 00000000B72C: D2670079 00024722
	v_cvt_pk_f16_f32 v122, v36, v37                            // 00000000B734: D267007A 00024B24
	v_cvt_pk_f16_f32 v123, v38, v39                            // 00000000B73C: D267007B 00024F26
	v_permlane16_swap_b32_e32 v117, v119                       // 00000000B744: 7EEAB377
	v_mfma_f32_16x16x32_f16 v[68:71], v[76:79], a[100:103], v[68:71]// 00000000B748: D3D40044 1512C94C
	ds_read_b64_tr_b16 a[124:125], v10 offset:15360            // 00000000B750: DBC63C00 7C00000A
	ds_read_b64_tr_b16 a[126:127], v10 offset:15616            // 00000000B758: DBC63D00 7E00000A
	v_mfma_f32_16x16x32_f16 v[68:71], v[80:83], a[104:107], v[68:71]// 00000000B760: D3D40044 1512D150
	v_permlane16_swap_b32_e32 v120, v122                       // 00000000B768: 7EF0B37A
	v_mfma_f32_16x16x32_f16 v[68:71], v[84:87], a[108:111], v[68:71]// 00000000B76C: D3D40044 1512D954
	v_permlane16_swap_b32_e32 v121, v123                       // 00000000B774: 7EF2B37B
	s_waitcnt lgkmcnt(8)                                       // 00000000B778: BF8CC87F
	v_mfma_f32_32x32x16_f16 v[126:141], v[88:91], v[116:119], v[126:141]// 00000000B77C: D3D5007E 05FAE958
	v_subrev_f32_dpp v56, v124, v56 quad_perm:[0,0,0,0] row_mask:0xf bank_mask:0xf// 00000000B784: 067070FA FF00007C
	v_subrev_f32_dpp v57, v124, v57 quad_perm:[1,1,1,1] row_mask:0xf bank_mask:0xf// 00000000B78C: 067272FA FF00557C
	v_subrev_f32_dpp v58, v124, v58 quad_perm:[2,2,2,2] row_mask:0xf bank_mask:0xf// 00000000B794: 067474FA FF00AA7C
	v_subrev_f32_dpp v59, v124, v59 quad_perm:[3,3,3,3] row_mask:0xf bank_mask:0xf// 00000000B79C: 067676FA FF00FF7C
	v_subrev_f32_dpp v60, v124, v60 quad_perm:[0,0,0,0] row_mask:0xf bank_mask:0xf// 00000000B7A4: 067878FA FF00007C
	v_subrev_f32_dpp v61, v124, v61 quad_perm:[1,1,1,1] row_mask:0xf bank_mask:0xf// 00000000B7AC: 067A7AFA FF00557C
	v_subrev_f32_dpp v62, v124, v62 quad_perm:[2,2,2,2] row_mask:0xf bank_mask:0xf// 00000000B7B4: 067C7CFA FF00AA7C
	v_subrev_f32_dpp v63, v124, v63 quad_perm:[3,3,3,3] row_mask:0xf bank_mask:0xf// 00000000B7BC: 067E7EFA FF00FF7C
	v_mul_f32_e32 v56, v24, v56                                // 00000000B7C4: 0A707118
	v_mul_f32_e32 v57, v25, v57                                // 00000000B7C8: 0A727319
	v_mfma_f32_32x32x16_f16 v[142:157], v[92:95], v[116:119], v[142:157]// 00000000B7CC: D3D5008E 063AE95C
	ds_read_b64_tr_b16 a[0:1], v15                             // 00000000B7D4: DBC60000 0000000F
	ds_read_b64_tr_b16 a[2:3], v15 offset:256                  // 00000000B7DC: DBC60100 0200000F
	ds_read_b64_tr_b16 a[4:5], v16                             // 00000000B7E4: DBC60000 04000010
	ds_read_b64_tr_b16 a[6:7], v16 offset:256                  // 00000000B7EC: DBC60100 06000010
	buffer_atomic_add_f32 v110, v6, s[32:35], 0 offen          // 00000000B7F4: E1341000 80086E06
	v_mfma_f32_32x32x16_f16 v[158:173], v[96:99], v[116:119], v[158:173]// 00000000B7FC: D3D5009E 067AE960
	v_mul_f32_e32 v58, v26, v58                                // 00000000B804: 0A74751A
	v_mul_f32_e32 v59, v27, v59                                // 00000000B808: 0A76771B
	v_mul_f32_e32 v60, v28, v60                                // 00000000B80C: 0A78791C
	v_mul_f32_e32 v61, v29, v61                                // 00000000B810: 0A7A7B1D
	v_mul_f32_e32 v62, v30, v62                                // 00000000B814: 0A7C7D1E
	v_mul_f32_e32 v63, v31, v63                                // 00000000B818: 0A7E7F1F
	v_cvt_pk_f16_f32 v56, v56, v57                             // 00000000B81C: D2670038 00027338
	v_cvt_pk_f16_f32 v57, v58, v59                             // 00000000B824: D2670039 0002773A
	v_cvt_pk_f16_f32 v58, v60, v61                             // 00000000B82C: D267003A 00027B3C
	v_cvt_pk_f16_f32 v59, v62, v63                             // 00000000B834: D267003B 00027F3E
	v_subrev_f32_dpp v64, v124, v64 quad_perm:[0,0,0,0] row_mask:0xf bank_mask:0xf// 00000000B83C: 068080FA FF00007C
	v_subrev_f32_dpp v65, v124, v65 quad_perm:[1,1,1,1] row_mask:0xf bank_mask:0xf// 00000000B844: 068282FA FF00557C
	v_subrev_f32_dpp v66, v124, v66 quad_perm:[2,2,2,2] row_mask:0xf bank_mask:0xf// 00000000B84C: 068484FA FF00AA7C
	v_subrev_f32_dpp v67, v124, v67 quad_perm:[3,3,3,3] row_mask:0xf bank_mask:0xf// 00000000B854: 068686FA FF00FF7C
	v_mfma_f32_32x32x16_f16 v[174:189], v[100:103], v[116:119], v[174:189]// 00000000B85C: D3D500AE 06BAE964
	ds_read_b64_tr_b16 a[8:9], v15 offset:8192                 // 00000000B864: DBC62000 0800000F
	ds_read_b64_tr_b16 a[10:11], v15 offset:8448               // 00000000B86C: DBC62100 0A00000F
	ds_read_b64_tr_b16 a[12:13], v16 offset:8192               // 00000000B874: DBC62000 0C000010
	ds_read_b64_tr_b16 a[14:15], v16 offset:8448               // 00000000B87C: DBC62100 0E000010
	v_mfma_f32_32x32x16_f16 v[190:205], v[88:91], v[120:123], v[190:205]// 00000000B884: D3D500BE 06FAF158
	v_subrev_f32_dpp v68, v124, v68 quad_perm:[0,0,0,0] row_mask:0xf bank_mask:0xf// 00000000B88C: 068888FA FF00007C
	v_subrev_f32_dpp v69, v124, v69 quad_perm:[1,1,1,1] row_mask:0xf bank_mask:0xf// 00000000B894: 068A8AFA FF00557C
	v_subrev_f32_dpp v70, v124, v70 quad_perm:[2,2,2,2] row_mask:0xf bank_mask:0xf// 00000000B89C: 068C8CFA FF00AA7C
	v_subrev_f32_dpp v71, v124, v71 quad_perm:[3,3,3,3] row_mask:0xf bank_mask:0xf// 00000000B8A4: 068E8EFA FF00FF7C
	v_mul_f32_e32 v64, v32, v64                                // 00000000B8AC: 0A808120
	v_mul_f32_e32 v65, v33, v65                                // 00000000B8B0: 0A828321
	v_mul_f32_e32 v66, v34, v66                                // 00000000B8B4: 0A848522
	v_mul_f32_e32 v67, v35, v67                                // 00000000B8B8: 0A868723
	v_mul_f32_e32 v68, v36, v68                                // 00000000B8BC: 0A888924
	v_mul_f32_e32 v69, v37, v69                                // 00000000B8C0: 0A8A8B25
	v_mul_f32_e32 v70, v38, v70                                // 00000000B8C4: 0A8C8D26
	v_mul_f32_e32 v71, v39, v71                                // 00000000B8C8: 0A8E8F27
	v_cvt_pk_f16_f32 v60, v64, v65                             // 00000000B8CC: D267003C 00028340
	v_cvt_pk_f16_f32 v61, v66, v67                             // 00000000B8D4: D267003D 00028742
	v_cvt_pk_f16_f32 v62, v68, v69                             // 00000000B8DC: D267003E 00028B44
	v_cvt_pk_f16_f32 v63, v70, v71                             // 00000000B8E4: D267003F 00028F46
	v_mfma_f32_32x32x16_f16 v[206:221], v[92:95], v[120:123], v[206:221]// 00000000B8EC: D3D500CE 073AF15C
	ds_read_b64_tr_b16 a[16:17], v15 offset:16384              // 00000000B8F4: DBC64000 1000000F
	ds_read_b64_tr_b16 a[18:19], v15 offset:16640              // 00000000B8FC: DBC64100 1200000F
	ds_write_b64 v12, v[56:57] offset:32768                    // 00000000B904: D89A8000 0000380C
	ds_write_b64 v12, v[58:59] offset:35072                    // 00000000B90C: D89A8900 00003A0C
	buffer_atomic_add_f32 v111, v7, s[32:35], 0 offen          // 00000000B914: E1341000 80086F07
	v_mfma_f32_32x32x16_f16 v[222:237], v[96:99], v[120:123], v[222:237]// 00000000B91C: D3D500DE 077AF160
	v_permlane16_swap_b32_e32 v56, v58                         // 00000000B924: 7E70B33A
	v_permlane16_swap_b32_e32 v57, v59                         // 00000000B928: 7E72B33B
	s_nop 1                                                    // 00000000B92C: BF800001
	v_mfma_f32_32x32x16_f16 v[238:253], v[100:103], v[120:123], v[238:253]// 00000000B930: D3D500EE 07BAF164
	ds_read_b32 v104, v13 offset:41984                         // 00000000B938: D86CA400 6800000D
	ds_read_b32 v124, v13 offset:42240                         // 00000000B940: D86CA500 7C00000D
	ds_write_b64 v12, v[60:61] offset:37376                    // 00000000B948: D89A9200 00003C0C
	ds_write_b64 v12, v[62:63] offset:39680                    // 00000000B950: D89A9B00 00003E0C
	s_waitcnt lgkmcnt(12)                                      // 00000000B958: BF8CCC7F
	v_mfma_f32_32x32x16_f16 a[128:143], a[112:115], v[56:59], a[128:143]// 00000000B95C: D3D58080 0E027170
	v_permlane16_swap_b32_e32 v60, v62                         // 00000000B964: 7E78B33E
	buffer_atomic_add_f32 v112, v4, s[32:35], 0 offen offset:64// 00000000B968: E1341040 80087004
	v_mfma_f32_32x32x16_f16 a[144:159], a[116:119], v[56:59], a[144:159]// 00000000B970: D3D58090 0E427174
	ds_read_b64_tr_b16 a[20:21], v16 offset:16384              // 00000000B978: DBC64000 14000010
	ds_read_b64_tr_b16 a[22:23], v16 offset:16640              // 00000000B980: DBC64100 16000010
	ds_read_b64_tr_b16 a[24:25], v15 offset:24576              // 00000000B988: DBC66000 1800000F
	ds_read_b64_tr_b16 a[26:27], v15 offset:24832              // 00000000B990: DBC66100 1A00000F
	ds_read_b64_tr_b16 a[28:29], v16 offset:24576              // 00000000B998: DBC66000 1C000010
	ds_read_b64_tr_b16 a[30:31], v16 offset:24832              // 00000000B9A0: DBC66100 1E000010
	ds_read_b64_tr_b16 a[32:33], v15 offset:32768              // 00000000B9A8: DBC68000 2000000F
	ds_read_b64_tr_b16 a[34:35], v15 offset:33024              // 00000000B9B0: DBC68100 2200000F
	s_waitcnt lgkmcnt(8)                                       // 00000000B9B8: BF8CC87F
	s_barrier                                                  // 00000000B9BC: BF8A0000
	v_mfma_f32_32x32x16_f16 a[160:175], a[120:123], v[56:59], a[160:175]// 00000000B9C0: D3D580A0 0E827178
	v_permlane16_swap_b32_e32 v61, v63                         // 00000000B9C8: 7E7AB33F
	v_mul_f32_e32 v104, s48, v104                              // 00000000B9CC: 0AD0D030
	buffer_atomic_add_f32 v113, v5, s[32:35], 0 offen offset:64// 00000000B9D0: E1341040 80087105
	v_mfma_f32_32x32x16_f16 a[176:191], a[124:127], v[56:59], a[176:191]// 00000000B9D8: D3D580B0 0EC2717C
	ds_read_b64_tr_b16 v[24:25], v11 offset:32768              // 00000000B9E0: D9C68000 1800000B
	ds_read_b64_tr_b16 v[26:27], v11 offset:32800              // 00000000B9E8: D9C68020 1A00000B
	ds_read_b64_tr_b16 v[28:29], v11 offset:33920              // 00000000B9F0: D9C68480 1C00000B
	ds_read_b64_tr_b16 v[30:31], v11 offset:33952              // 00000000B9F8: D9C684A0 1E00000B
	ds_read_b64_tr_b16 v[32:33], v11 offset:35072              // 00000000BA00: D9C68900 2000000B
	ds_read_b64_tr_b16 v[34:35], v11 offset:35104              // 00000000BA08: D9C68920 2200000B
	ds_read_b64_tr_b16 v[36:37], v11 offset:36224              // 00000000BA10: D9C68D80 2400000B
	ds_read_b64_tr_b16 v[38:39], v11 offset:36256              // 00000000BA18: D9C68DA0 2600000B
	v_mfma_f32_32x32x16_f16 a[192:207], a[112:115], v[60:63], a[192:207]// 00000000BA20: D3D580C0 0F027970
	v_mov_b32_dpp v107, v104 quad_perm:[3,3,3,3] row_mask:0xf bank_mask:0xf// 00000000BA28: 7ED602FA FF00FF68
	v_mov_b32_dpp v106, v104 quad_perm:[2,2,2,2] row_mask:0xf bank_mask:0xf// 00000000BA30: 7ED402FA FF00AA68
	buffer_atomic_add_f32 v114, v6, s[32:35], 0 offen offset:64// 00000000BA38: E1341040 80087206
	v_mfma_f32_32x32x16_f16 a[208:223], a[116:119], v[60:63], a[208:223]// 00000000BA40: D3D580D0 0F427974
	ds_read_b64_tr_b16 v[40:41], v11 offset:37376              // 00000000BA48: D9C69200 2800000B
	ds_read_b64_tr_b16 v[42:43], v11 offset:37408              // 00000000BA50: D9C69220 2A00000B
	ds_read_b64_tr_b16 v[44:45], v11 offset:38528              // 00000000BA58: D9C69680 2C00000B
	ds_read_b64_tr_b16 v[46:47], v11 offset:38560              // 00000000BA60: D9C696A0 2E00000B
	ds_read_b64_tr_b16 a[36:37], v16 offset:32768              // 00000000BA68: DBC68000 24000010
	ds_read_b64_tr_b16 a[38:39], v16 offset:33024              // 00000000BA70: DBC68100 26000010
	ds_read_b64_tr_b16 a[40:41], v15 offset:40960              // 00000000BA78: DBC6A000 2800000F
	ds_read_b64_tr_b16 a[42:43], v15 offset:41216              // 00000000BA80: DBC6A100 2A00000F
	v_mfma_f32_32x32x16_f16 a[224:239], a[120:123], v[60:63], a[224:239]// 00000000BA88: D3D580E0 0F827978
	v_mov_b32_dpp v105, v104 quad_perm:[1,1,1,1] row_mask:0xf bank_mask:0xf// 00000000BA90: 7ED202FA FF005568
	v_mov_b32_dpp v104, v104 quad_perm:[0,0,0,0] row_mask:0xf bank_mask:0xf// 00000000BA98: 7ED002FA FF000068
	buffer_atomic_add_f32 v115, v7, s[32:35], 0 offen offset:64// 00000000BAA0: E1341040 80087307
	v_mfma_f32_32x32x16_f16 a[240:255], a[124:127], v[60:63], a[240:255]// 00000000BAA8: D3D580F0 0FC2797C
	ds_read_b64_tr_b16 v[48:49], v11 offset:39680              // 00000000BAB0: D9C69B00 3000000B
	ds_read_b64_tr_b16 v[50:51], v11 offset:39712              // 00000000BAB8: D9C69B20 3200000B
	ds_read_b64_tr_b16 v[52:53], v11 offset:40832              // 00000000BAC0: D9C69F80 3400000B
	ds_read_b64_tr_b16 v[54:55], v11 offset:40864              // 00000000BAC8: D9C69FA0 3600000B
	ds_read_b64_tr_b16 a[44:45], v16 offset:40960              // 00000000BAD0: DBC6A000 2C000010
	ds_read_b64_tr_b16 a[46:47], v16 offset:41216              // 00000000BAD8: DBC6A100 2E000010
	s_waitcnt vmcnt(8) lgkmcnt(6)                              // 00000000BAE0: BF8C0678
	s_barrier                                                  // 00000000BAE4: BF8A0000
	v_mfma_f32_16x16x32_f16 v[108:111], v[24:27], a[0:3], 0    // 00000000BAE8: D3D4006C 12020118
	s_mov_b32 m0, s84                                          // 00000000BAF0: BEFC0054
	buffer_load_dwordx4 v1, s[8:11], 0 idxen lds               // 00000000BAF4: E05D2000 80020001
	v_mfma_f32_16x16x32_f16 v[108:111], v[28:31], a[8:11], v[108:111]// 00000000BAFC: D3D4006C 15B2111C
	ds_read_b64_tr_b16 v[56:57], v15 offset:49152              // 00000000BB04: D9C6C000 3800000F
	ds_read_b64_tr_b16 v[58:59], v15 offset:49408              // 00000000BB0C: D9C6C100 3A00000F
	ds_read_b64_tr_b16 v[60:61], v16 offset:49152              // 00000000BB14: D9C6C000 3C000010
	ds_read_b64_tr_b16 v[62:63], v16 offset:49408              // 00000000BB1C: D9C6C100 3E000010
	v_mfma_f32_16x16x32_f16 v[108:111], v[32:35], a[16:19], v[108:111]// 00000000BB24: D3D4006C 15B22120
	s_mov_b32 m0, s88                                          // 00000000BB2C: BEFC0058
	buffer_load_dwordx4 v254, s[20:23], 0 idxen lds            // 00000000BB30: E05D2000 800500FE
	v_mfma_f32_16x16x32_f16 v[108:111], v[36:39], a[24:27], v[108:111]// 00000000BB38: D3D4006C 15B23124
	ds_read_b64_tr_b16 v[64:65], v15 offset:57344              // 00000000BB40: D9C6E000 4000000F
	ds_read_b64_tr_b16 v[66:67], v15 offset:57600              // 00000000BB48: D9C6E100 4200000F
	ds_read_b64_tr_b16 v[68:69], v16 offset:57344              // 00000000BB50: D9C6E000 44000010
	ds_read_b64_tr_b16 v[70:71], v16 offset:57600              // 00000000BB58: D9C6E100 46000010
	v_mfma_f32_16x16x32_f16 v[108:111], v[40:43], a[32:35], v[108:111]// 00000000BB60: D3D4006C 15B24128
	s_mov_b32 m0, s80                                          // 00000000BB68: BEFC0050
	buffer_load_dword v8, s[24:27], 0 idxen lds                // 00000000BB6C: E0512000 80060008
	v_mfma_f32_16x16x32_f16 v[108:111], v[44:47], a[40:43], v[108:111]// 00000000BB74: D3D4006C 15B2512C
	ds_read_b128 a[112:115], v9                                // 00000000BB7C: DBFE0000 70000009
	ds_read_b128 a[116:119], v9 offset:1024                    // 00000000BB84: DBFE0400 74000009
	s_waitcnt lgkmcnt(4)                                       // 00000000BB8C: BF8CC47F
	s_barrier                                                  // 00000000BB90: BF8A0000
	v_mfma_f32_16x16x32_f16 v[108:111], v[48:51], v[56:59], v[108:111]// 00000000BB94: D3D4006C 05B27130
	s_add_u32 s60, 64, s59                                     // 00000000BB9C: 803C3BC0
	s_cmp_lt_u32 s60, s58                                      // 00000000BBA0: BF0A3A3C
	s_cselect_b32 s68, s68, 0                                  // 00000000BBA4: 85448044
	s_cselect_b32 s98, s98, 0                                  // 00000000BBA8: 85628062
	s_cselect_b32 s69, s69, 0                                  // 00000000BBAC: 85458045
	v_mfma_f32_16x16x32_f16 v[108:111], v[52:55], v[64:67], v[108:111]// 00000000BBB0: D3D4006C 05B28134
	ds_read_b128 a[120:123], v9 offset:2048                    // 00000000BBB8: DBFE0800 78000009
	ds_read_b128 a[124:127], v9 offset:3072                    // 00000000BBC0: DBFE0C00 7C000009
	v_mfma_f32_16x16x32_f16 v[112:115], v[24:27], a[4:7], 0    // 00000000BBC8: D3D40070 12020918
	v_add_u32_e32 v1, s68, v1                                  // 00000000BBD0: 68020244
	v_add_u32_e32 v254, s98, v254                              // 00000000BBD4: 69FDFC62
	v_add_u32_e32 v8, s69, v8                                  // 00000000BBD8: 68101045
	v_mfma_f32_16x16x32_f16 v[112:115], v[28:31], a[12:15], v[112:115]// 00000000BBDC: D3D40070 15C2191C
	ds_read_b128 a[0:3], v14                                   // 00000000BBE4: DBFE0000 0000000E
	ds_read_b128 a[4:7], v14 offset:1024                       // 00000000BBEC: DBFE0400 0400000E
	v_mfma_f32_16x16x32_f16 v[112:115], v[32:35], a[20:23], v[112:115]// 00000000BBF4: D3D40070 15C22920
	v_mul_f32_e32 v108, s47, v108                              // 00000000BBFC: 0AD8D82F
	v_mul_f32_e32 v109, s47, v109                              // 00000000BC00: 0ADADA2F
	v_mfma_f32_16x16x32_f16 v[112:115], v[36:39], a[28:31], v[112:115]// 00000000BC04: D3D40070 15C23924
	ds_read_b128 a[8:11], v14 offset:2048                      // 00000000BC0C: DBFE0800 0800000E
	ds_read_b128 a[12:15], v14 offset:3072                     // 00000000BC14: DBFE0C00 0C00000E
	v_mfma_f32_16x16x32_f16 v[112:115], v[40:43], a[36:39], v[112:115]// 00000000BC1C: D3D40070 15C24928
	v_mul_f32_e32 v110, s47, v110                              // 00000000BC24: 0ADCDC2F
	s_cmp_ge_u32 s59, s73                                      // 00000000BC28: BF09493B
	s_cselect_b32 s66, s67, s66                                // 00000000BC2C: 85424243
	v_mfma_f32_16x16x32_f16 v[112:115], v[44:47], a[44:47], v[112:115]// 00000000BC30: D3D40070 15C2592C
	ds_read_b128 a[16:19], v14 offset:16384                    // 00000000BC38: DBFE4000 1000000E
	ds_read_b128 a[20:23], v14 offset:17408                    // 00000000BC40: DBFE4400 1400000E
	s_waitcnt lgkmcnt(10)                                      // 00000000BC48: BF8CCA7F
	v_mfma_f32_16x16x32_f16 v[112:115], v[48:51], v[60:63], v[112:115]// 00000000BC4C: D3D40070 05C27930
	s_addk_i32 s59, 0x10                                       // 00000000BC54: B73B0010
	v_mul_f32_e32 v111, s47, v111                              // 00000000BC58: 0ADEDE2F
	s_cmp_lt_i32 s59, s58                                      // 00000000BC5C: BF043A3B
	v_mfma_f32_16x16x32_f16 v[112:115], v[52:55], v[68:71], v[112:115]// 00000000BC60: D3D40070 05C28934
	ds_read_b128 a[24:27], v14 offset:18432                    // 00000000BC68: DBFE4800 1800000E
	ds_read_b128 a[28:31], v14 offset:19456                    // 00000000BC70: DBFE4C00 1C00000E
	s_cbranch_scc0 label_12CC                                  // 00000000BC78: BF84F399
	s_branch label_12CF                                        // 00000000BC7C: BF82F39B

000000000000bc80 <label_1F48>:
	v_lshlrev_b32_e32 v18, 1, v0                               // 00000000BC80: 24240081
	s_mul_i32 s60, s46, 0x840                                  // 00000000BC84: 923CFF2E 00000840
	v_add_u32_e32 v18, s60, v18                                // 00000000BC8C: 6824243C
	v_lshlrev_b32_e32 v18, 2, v18                              // 00000000BC90: 24242482
	v_mul_f32_e32 v112, s47, v112                              // 00000000BC94: 0AE0E02F
	v_mul_f32_e32 v113, s47, v113                              // 00000000BC98: 0AE2E22F
	v_mul_f32_e32 v114, s47, v114                              // 00000000BC9C: 0AE4E42F
	v_mul_f32_e32 v115, s47, v115                              // 00000000BCA0: 0AE6E62F
	v_add_u32_e32 v4, s66, v4                                  // 00000000BCA4: 68080842
	v_add_u32_e32 v5, s66, v5                                  // 00000000BCA8: 680A0A42
	v_add_u32_e32 v6, s66, v6                                  // 00000000BCAC: 680C0C42
	v_add_u32_e32 v7, s66, v7                                  // 00000000BCB0: 680E0E42
	buffer_atomic_add_f32 v108, v4, s[32:35], 0 offen          // 00000000BCB4: E1341000 80086C04
	buffer_atomic_add_f32 v109, v5, s[32:35], 0 offen          // 00000000BCBC: E1341000 80086D05
	buffer_atomic_add_f32 v110, v6, s[32:35], 0 offen          // 00000000BCC4: E1341000 80086E06
	buffer_atomic_add_f32 v111, v7, s[32:35], 0 offen          // 00000000BCCC: E1341000 80086F07
	buffer_atomic_add_f32 v112, v4, s[32:35], 0 offen offset:64// 00000000BCD4: E1341040 80087004
	buffer_atomic_add_f32 v113, v5, s[32:35], 0 offen offset:64// 00000000BCDC: E1341040 80087105
	buffer_atomic_add_f32 v114, v6, s[32:35], 0 offen offset:64// 00000000BCE4: E1341040 80087206
	buffer_atomic_add_f32 v115, v7, s[32:35], 0 offen offset:64// 00000000BCEC: E1341040 80087307
	v_and_b32_e32 v20, 15, v0                                  // 00000000BCF4: 2628008F
	s_lshr_b32 s60, s63, 3                                     // 00000000BCF8: 8F3C833F
	v_cmp_lt_u32_e64 s[44:45], v20, s60                        // 00000000BCFC: D0C9002C 00007914
	v_lshrrev_b32_e32 v20, 4, v0                               // 00000000BD04: 20280084
	v_mul_i32_i24_e32 v17, 2, v20                              // 00000000BD08: 0C222882
	v_and_b32_e32 v20, 15, v0                                  // 00000000BD0C: 2628008F
	v_mul_i32_i24_e32 v21, 0x84, v20                           // 00000000BD10: 0C2A28FF 00000084
	v_add_u32_e32 v17, v21, v17                                // 00000000BD18: 68222315
	s_mul_i32 s60, s46, 0x840                                  // 00000000BD1C: 923CFF2E 00000840
	v_add_u32_e32 v17, s60, v17                                // 00000000BD24: 6822223C
	v_lshlrev_b32_e32 v17, 2, v17                              // 00000000BD28: 24222282
	s_waitcnt vmcnt(0) expcnt(0) lgkmcnt(0)                    // 00000000BD2C: BF8C0000
	s_barrier                                                  // 00000000BD30: BF8A0000
	v_mov_b32_e32 v22, v126                                    // 00000000BD34: 7E2C037E
	v_mov_b32_e32 v23, v127                                    // 00000000BD38: 7E2E037F
	v_cvt_pk_f16_f32 v126, v22, v23                            // 00000000BD3C: D267007E 00022F16
	v_mov_b32_e32 v22, v128                                    // 00000000BD44: 7E2C0380
	v_mov_b32_e32 v23, v129                                    // 00000000BD48: 7E2E0381
	v_cvt_pk_f16_f32 v127, v22, v23                            // 00000000BD4C: D267007F 00022F16
	v_mov_b32_e32 v22, v130                                    // 00000000BD54: 7E2C0382
	v_mov_b32_e32 v23, v131                                    // 00000000BD58: 7E2E0383
	v_cvt_pk_f16_f32 v128, v22, v23                            // 00000000BD5C: D2670080 00022F16
	v_mov_b32_e32 v22, v132                                    // 00000000BD64: 7E2C0384
	v_mov_b32_e32 v23, v133                                    // 00000000BD68: 7E2E0385
	v_cvt_pk_f16_f32 v129, v22, v23                            // 00000000BD6C: D2670081 00022F16
	v_mov_b32_e32 v22, v134                                    // 00000000BD74: 7E2C0386
	v_mov_b32_e32 v23, v135                                    // 00000000BD78: 7E2E0387
	v_cvt_pk_f16_f32 v130, v22, v23                            // 00000000BD7C: D2670082 00022F16
	v_mov_b32_e32 v22, v136                                    // 00000000BD84: 7E2C0388
	v_mov_b32_e32 v23, v137                                    // 00000000BD88: 7E2E0389
	v_cvt_pk_f16_f32 v131, v22, v23                            // 00000000BD8C: D2670083 00022F16
	v_mov_b32_e32 v22, v138                                    // 00000000BD94: 7E2C038A
	v_mov_b32_e32 v23, v139                                    // 00000000BD98: 7E2E038B
	v_cvt_pk_f16_f32 v132, v22, v23                            // 00000000BD9C: D2670084 00022F16
	v_mov_b32_e32 v22, v140                                    // 00000000BDA4: 7E2C038C
	v_mov_b32_e32 v23, v141                                    // 00000000BDA8: 7E2E038D
	v_cvt_pk_f16_f32 v133, v22, v23                            // 00000000BDAC: D2670085 00022F16
	v_mov_b32_e32 v22, v142                                    // 00000000BDB4: 7E2C038E
	v_mov_b32_e32 v23, v143                                    // 00000000BDB8: 7E2E038F
	v_cvt_pk_f16_f32 v134, v22, v23                            // 00000000BDBC: D2670086 00022F16
	v_mov_b32_e32 v22, v144                                    // 00000000BDC4: 7E2C0390
	v_mov_b32_e32 v23, v145                                    // 00000000BDC8: 7E2E0391
	v_cvt_pk_f16_f32 v135, v22, v23                            // 00000000BDCC: D2670087 00022F16
	v_mov_b32_e32 v22, v146                                    // 00000000BDD4: 7E2C0392
	v_mov_b32_e32 v23, v147                                    // 00000000BDD8: 7E2E0393
	v_cvt_pk_f16_f32 v136, v22, v23                            // 00000000BDDC: D2670088 00022F16
	v_mov_b32_e32 v22, v148                                    // 00000000BDE4: 7E2C0394
	v_mov_b32_e32 v23, v149                                    // 00000000BDE8: 7E2E0395
	v_cvt_pk_f16_f32 v137, v22, v23                            // 00000000BDEC: D2670089 00022F16
	v_mov_b32_e32 v22, v150                                    // 00000000BDF4: 7E2C0396
	v_mov_b32_e32 v23, v151                                    // 00000000BDF8: 7E2E0397
	v_cvt_pk_f16_f32 v138, v22, v23                            // 00000000BDFC: D267008A 00022F16
	v_mov_b32_e32 v22, v152                                    // 00000000BE04: 7E2C0398
	v_mov_b32_e32 v23, v153                                    // 00000000BE08: 7E2E0399
	v_cvt_pk_f16_f32 v139, v22, v23                            // 00000000BE0C: D267008B 00022F16
	v_mov_b32_e32 v22, v154                                    // 00000000BE14: 7E2C039A
	v_mov_b32_e32 v23, v155                                    // 00000000BE18: 7E2E039B
	v_cvt_pk_f16_f32 v140, v22, v23                            // 00000000BE1C: D267008C 00022F16
	v_mov_b32_e32 v22, v156                                    // 00000000BE24: 7E2C039C
	v_mov_b32_e32 v23, v157                                    // 00000000BE28: 7E2E039D
	v_cvt_pk_f16_f32 v141, v22, v23                            // 00000000BE2C: D267008D 00022F16
	v_mov_b32_e32 v22, v158                                    // 00000000BE34: 7E2C039E
	v_mov_b32_e32 v23, v159                                    // 00000000BE38: 7E2E039F
	v_cvt_pk_f16_f32 v142, v22, v23                            // 00000000BE3C: D267008E 00022F16
	v_mov_b32_e32 v22, v160                                    // 00000000BE44: 7E2C03A0
	v_mov_b32_e32 v23, v161                                    // 00000000BE48: 7E2E03A1
	v_cvt_pk_f16_f32 v143, v22, v23                            // 00000000BE4C: D267008F 00022F16
	v_mov_b32_e32 v22, v162                                    // 00000000BE54: 7E2C03A2
	v_mov_b32_e32 v23, v163                                    // 00000000BE58: 7E2E03A3
	v_cvt_pk_f16_f32 v144, v22, v23                            // 00000000BE5C: D2670090 00022F16
	v_mov_b32_e32 v22, v164                                    // 00000000BE64: 7E2C03A4
	v_mov_b32_e32 v23, v165                                    // 00000000BE68: 7E2E03A5
	v_cvt_pk_f16_f32 v145, v22, v23                            // 00000000BE6C: D2670091 00022F16
	v_mov_b32_e32 v22, v166                                    // 00000000BE74: 7E2C03A6
	v_mov_b32_e32 v23, v167                                    // 00000000BE78: 7E2E03A7
	v_cvt_pk_f16_f32 v146, v22, v23                            // 00000000BE7C: D2670092 00022F16
	v_mov_b32_e32 v22, v168                                    // 00000000BE84: 7E2C03A8
	v_mov_b32_e32 v23, v169                                    // 00000000BE88: 7E2E03A9
	v_cvt_pk_f16_f32 v147, v22, v23                            // 00000000BE8C: D2670093 00022F16
	v_mov_b32_e32 v22, v170                                    // 00000000BE94: 7E2C03AA
	v_mov_b32_e32 v23, v171                                    // 00000000BE98: 7E2E03AB
	v_cvt_pk_f16_f32 v148, v22, v23                            // 00000000BE9C: D2670094 00022F16
	v_mov_b32_e32 v22, v172                                    // 00000000BEA4: 7E2C03AC
	v_mov_b32_e32 v23, v173                                    // 00000000BEA8: 7E2E03AD
	v_cvt_pk_f16_f32 v149, v22, v23                            // 00000000BEAC: D2670095 00022F16
	v_mov_b32_e32 v22, v174                                    // 00000000BEB4: 7E2C03AE
	v_mov_b32_e32 v23, v175                                    // 00000000BEB8: 7E2E03AF
	v_cvt_pk_f16_f32 v150, v22, v23                            // 00000000BEBC: D2670096 00022F16
	v_mov_b32_e32 v22, v176                                    // 00000000BEC4: 7E2C03B0
	v_mov_b32_e32 v23, v177                                    // 00000000BEC8: 7E2E03B1
	v_cvt_pk_f16_f32 v151, v22, v23                            // 00000000BECC: D2670097 00022F16
	v_mov_b32_e32 v22, v178                                    // 00000000BED4: 7E2C03B2
	v_mov_b32_e32 v23, v179                                    // 00000000BED8: 7E2E03B3
	v_cvt_pk_f16_f32 v152, v22, v23                            // 00000000BEDC: D2670098 00022F16
	v_mov_b32_e32 v22, v180                                    // 00000000BEE4: 7E2C03B4
	v_mov_b32_e32 v23, v181                                    // 00000000BEE8: 7E2E03B5
	v_cvt_pk_f16_f32 v153, v22, v23                            // 00000000BEEC: D2670099 00022F16
	v_mov_b32_e32 v22, v182                                    // 00000000BEF4: 7E2C03B6
	v_mov_b32_e32 v23, v183                                    // 00000000BEF8: 7E2E03B7
	v_cvt_pk_f16_f32 v154, v22, v23                            // 00000000BEFC: D267009A 00022F16
	v_mov_b32_e32 v22, v184                                    // 00000000BF04: 7E2C03B8
	v_mov_b32_e32 v23, v185                                    // 00000000BF08: 7E2E03B9
	v_cvt_pk_f16_f32 v155, v22, v23                            // 00000000BF0C: D267009B 00022F16
	v_mov_b32_e32 v22, v186                                    // 00000000BF14: 7E2C03BA
	v_mov_b32_e32 v23, v187                                    // 00000000BF18: 7E2E03BB
	v_cvt_pk_f16_f32 v156, v22, v23                            // 00000000BF1C: D267009C 00022F16
	v_mov_b32_e32 v22, v188                                    // 00000000BF24: 7E2C03BC
	v_mov_b32_e32 v23, v189                                    // 00000000BF28: 7E2E03BD
	v_cvt_pk_f16_f32 v157, v22, v23                            // 00000000BF2C: D267009D 00022F16
	ds_write_b64 v18, v[126:127]                               // 00000000BF34: D89A0000 00007E12
	ds_write_b64 v18, v[128:129] offset:528                    // 00000000BF3C: D89A0210 00008012
	ds_write_b64 v18, v[130:131] offset:1056                   // 00000000BF44: D89A0420 00008212
	ds_write_b64 v18, v[132:133] offset:1584                   // 00000000BF4C: D89A0630 00008412
	ds_write_b64 v18, v[134:135] offset:2112                   // 00000000BF54: D89A0840 00008612
	ds_write_b64 v18, v[136:137] offset:2640                   // 00000000BF5C: D89A0A50 00008812
	ds_write_b64 v18, v[138:139] offset:3168                   // 00000000BF64: D89A0C60 00008A12
	ds_write_b64 v18, v[140:141] offset:3696                   // 00000000BF6C: D89A0E70 00008C12
	ds_write_b64 v18, v[142:143] offset:4224                   // 00000000BF74: D89A1080 00008E12
	ds_write_b64 v18, v[144:145] offset:4752                   // 00000000BF7C: D89A1290 00009012
	ds_write_b64 v18, v[146:147] offset:5280                   // 00000000BF84: D89A14A0 00009212
	ds_write_b64 v18, v[148:149] offset:5808                   // 00000000BF8C: D89A16B0 00009412
	ds_write_b64 v18, v[150:151] offset:6336                   // 00000000BF94: D89A18C0 00009612
	ds_write_b64 v18, v[152:153] offset:6864                   // 00000000BF9C: D89A1AD0 00009812
	ds_write_b64 v18, v[154:155] offset:7392                   // 00000000BFA4: D89A1CE0 00009A12
	ds_write_b64 v18, v[156:157] offset:7920                   // 00000000BFAC: D89A1EF0 00009C12
	s_waitcnt lgkmcnt(0)                                       // 00000000BFB4: BF8CC07F
	s_barrier                                                  // 00000000BFB8: BF8A0000
	ds_read_b64 v[126:127], v17                                // 00000000BFBC: D8EC0000 7E000011
	ds_read_b64 v[128:129], v17 offset:256                     // 00000000BFC4: D8EC0100 80000011
	ds_read_b64 v[130:131], v17 offset:32                      // 00000000BFCC: D8EC0020 82000011
	ds_read_b64 v[132:133], v17 offset:288                     // 00000000BFD4: D8EC0120 84000011
	ds_read_b64 v[134:135], v17 offset:64                      // 00000000BFDC: D8EC0040 86000011
	ds_read_b64 v[136:137], v17 offset:320                     // 00000000BFE4: D8EC0140 88000011
	ds_read_b64 v[138:139], v17 offset:96                      // 00000000BFEC: D8EC0060 8A000011
	ds_read_b64 v[140:141], v17 offset:352                     // 00000000BFF4: D8EC0160 8C000011
	ds_read_b64 v[142:143], v17 offset:128                     // 00000000BFFC: D8EC0080 8E000011
	ds_read_b64 v[144:145], v17 offset:384                     // 00000000C004: D8EC0180 90000011
	ds_read_b64 v[146:147], v17 offset:160                     // 00000000C00C: D8EC00A0 92000011
	ds_read_b64 v[148:149], v17 offset:416                     // 00000000C014: D8EC01A0 94000011
	ds_read_b64 v[150:151], v17 offset:192                     // 00000000C01C: D8EC00C0 96000011
	ds_read_b64 v[152:153], v17 offset:448                     // 00000000C024: D8EC01C0 98000011
	ds_read_b64 v[154:155], v17 offset:224                     // 00000000C02C: D8EC00E0 9A000011
	ds_read_b64 v[156:157], v17 offset:480                     // 00000000C034: D8EC01E0 9C000011
	s_waitcnt lgkmcnt(0)                                       // 00000000C03C: BF8CC07F
	s_mov_b32 s70, s53                                         // 00000000C040: BEC60035
	s_mov_b64 exec, s[44:45]                                   // 00000000C044: BEFE012C
	buffer_store_dwordx4 v[126:129], v3, s[40:43], 0 idxen     // 00000000C048: E07C2000 800A7E03
	s_mov_b64 exec, s[100:101]                                 // 00000000C050: BEFE0164
	v_add_u32_e32 v3, s70, v3                                  // 00000000C054: 68060646
	s_mov_b64 exec, s[44:45]                                   // 00000000C058: BEFE012C
	buffer_store_dwordx4 v[130:133], v3, s[40:43], 0 idxen     // 00000000C05C: E07C2000 800A8203
	s_mov_b64 exec, s[100:101]                                 // 00000000C064: BEFE0164
	v_add_u32_e32 v3, s70, v3                                  // 00000000C068: 68060646
	s_mov_b64 exec, s[44:45]                                   // 00000000C06C: BEFE012C
	buffer_store_dwordx4 v[134:137], v3, s[40:43], 0 idxen     // 00000000C070: E07C2000 800A8603
	s_mov_b64 exec, s[100:101]                                 // 00000000C078: BEFE0164
	v_add_u32_e32 v3, s70, v3                                  // 00000000C07C: 68060646
	s_mov_b64 exec, s[44:45]                                   // 00000000C080: BEFE012C
	buffer_store_dwordx4 v[138:141], v3, s[40:43], 0 idxen     // 00000000C084: E07C2000 800A8A03
	s_mov_b64 exec, s[100:101]                                 // 00000000C08C: BEFE0164
	v_add_u32_e32 v3, s70, v3                                  // 00000000C090: 68060646
	s_mul_i32 s60, 12, s70                                     // 00000000C094: 923C468C
	v_add_u32_e32 v3, s60, v3                                  // 00000000C098: 6806063C
	s_mov_b64 exec, s[44:45]                                   // 00000000C09C: BEFE012C
	buffer_store_dwordx4 v[142:145], v3, s[40:43], 0 idxen     // 00000000C0A0: E07C2000 800A8E03
	s_mov_b64 exec, s[100:101]                                 // 00000000C0A8: BEFE0164
	v_add_u32_e32 v3, s70, v3                                  // 00000000C0AC: 68060646
	s_mov_b64 exec, s[44:45]                                   // 00000000C0B0: BEFE012C
	buffer_store_dwordx4 v[146:149], v3, s[40:43], 0 idxen     // 00000000C0B4: E07C2000 800A9203
	s_mov_b64 exec, s[100:101]                                 // 00000000C0BC: BEFE0164
	v_add_u32_e32 v3, s70, v3                                  // 00000000C0C0: 68060646
	s_mov_b64 exec, s[44:45]                                   // 00000000C0C4: BEFE012C
	buffer_store_dwordx4 v[150:153], v3, s[40:43], 0 idxen     // 00000000C0C8: E07C2000 800A9603
	s_mov_b64 exec, s[100:101]                                 // 00000000C0D0: BEFE0164
	v_add_u32_e32 v3, s70, v3                                  // 00000000C0D4: 68060646
	s_mov_b64 exec, s[44:45]                                   // 00000000C0D8: BEFE012C
	buffer_store_dwordx4 v[154:157], v3, s[40:43], 0 idxen     // 00000000C0DC: E07C2000 800A9A03
	s_mov_b64 exec, s[100:101]                                 // 00000000C0E4: BEFE0164
	v_add_u32_e32 v3, s70, v3                                  // 00000000C0E8: 68060646
	s_mul_i32 s60, 12, s70                                     // 00000000C0EC: 923C468C
	v_add_u32_e32 v3, s60, v3                                  // 00000000C0F0: 6806063C
	s_barrier                                                  // 00000000C0F4: BF8A0000
	s_cmp_ge_i32 1, s72                                        // 00000000C0F8: BF034881
	s_cbranch_scc1 label_215B                                  // 00000000C0FC: BF8500F3
	v_mov_b32_e32 v22, v190                                    // 00000000C100: 7E2C03BE
	v_mov_b32_e32 v23, v191                                    // 00000000C104: 7E2E03BF
	v_cvt_pk_f16_f32 v158, v22, v23                            // 00000000C108: D267009E 00022F16
	v_mov_b32_e32 v22, v192                                    // 00000000C110: 7E2C03C0
	v_mov_b32_e32 v23, v193                                    // 00000000C114: 7E2E03C1
	v_cvt_pk_f16_f32 v159, v22, v23                            // 00000000C118: D267009F 00022F16
	v_mov_b32_e32 v22, v194                                    // 00000000C120: 7E2C03C2
	v_mov_b32_e32 v23, v195                                    // 00000000C124: 7E2E03C3
	v_cvt_pk_f16_f32 v160, v22, v23                            // 00000000C128: D26700A0 00022F16
	v_mov_b32_e32 v22, v196                                    // 00000000C130: 7E2C03C4
	v_mov_b32_e32 v23, v197                                    // 00000000C134: 7E2E03C5
	v_cvt_pk_f16_f32 v161, v22, v23                            // 00000000C138: D26700A1 00022F16
	v_mov_b32_e32 v22, v198                                    // 00000000C140: 7E2C03C6
	v_mov_b32_e32 v23, v199                                    // 00000000C144: 7E2E03C7
	v_cvt_pk_f16_f32 v162, v22, v23                            // 00000000C148: D26700A2 00022F16
	v_mov_b32_e32 v22, v200                                    // 00000000C150: 7E2C03C8
	v_mov_b32_e32 v23, v201                                    // 00000000C154: 7E2E03C9
	v_cvt_pk_f16_f32 v163, v22, v23                            // 00000000C158: D26700A3 00022F16
	v_mov_b32_e32 v22, v202                                    // 00000000C160: 7E2C03CA
	v_mov_b32_e32 v23, v203                                    // 00000000C164: 7E2E03CB
	v_cvt_pk_f16_f32 v164, v22, v23                            // 00000000C168: D26700A4 00022F16
	v_mov_b32_e32 v22, v204                                    // 00000000C170: 7E2C03CC
	v_mov_b32_e32 v23, v205                                    // 00000000C174: 7E2E03CD
	v_cvt_pk_f16_f32 v165, v22, v23                            // 00000000C178: D26700A5 00022F16
	v_mov_b32_e32 v22, v206                                    // 00000000C180: 7E2C03CE
	v_mov_b32_e32 v23, v207                                    // 00000000C184: 7E2E03CF
	v_cvt_pk_f16_f32 v166, v22, v23                            // 00000000C188: D26700A6 00022F16
	v_mov_b32_e32 v22, v208                                    // 00000000C190: 7E2C03D0
	v_mov_b32_e32 v23, v209                                    // 00000000C194: 7E2E03D1
	v_cvt_pk_f16_f32 v167, v22, v23                            // 00000000C198: D26700A7 00022F16
	v_mov_b32_e32 v22, v210                                    // 00000000C1A0: 7E2C03D2
	v_mov_b32_e32 v23, v211                                    // 00000000C1A4: 7E2E03D3
	v_cvt_pk_f16_f32 v168, v22, v23                            // 00000000C1A8: D26700A8 00022F16
	v_mov_b32_e32 v22, v212                                    // 00000000C1B0: 7E2C03D4
	v_mov_b32_e32 v23, v213                                    // 00000000C1B4: 7E2E03D5
	v_cvt_pk_f16_f32 v169, v22, v23                            // 00000000C1B8: D26700A9 00022F16
	v_mov_b32_e32 v22, v214                                    // 00000000C1C0: 7E2C03D6
	v_mov_b32_e32 v23, v215                                    // 00000000C1C4: 7E2E03D7
	v_cvt_pk_f16_f32 v170, v22, v23                            // 00000000C1C8: D26700AA 00022F16
	v_mov_b32_e32 v22, v216                                    // 00000000C1D0: 7E2C03D8
	v_mov_b32_e32 v23, v217                                    // 00000000C1D4: 7E2E03D9
	v_cvt_pk_f16_f32 v171, v22, v23                            // 00000000C1D8: D26700AB 00022F16
	v_mov_b32_e32 v22, v218                                    // 00000000C1E0: 7E2C03DA
	v_mov_b32_e32 v23, v219                                    // 00000000C1E4: 7E2E03DB
	v_cvt_pk_f16_f32 v172, v22, v23                            // 00000000C1E8: D26700AC 00022F16
	v_mov_b32_e32 v22, v220                                    // 00000000C1F0: 7E2C03DC
	v_mov_b32_e32 v23, v221                                    // 00000000C1F4: 7E2E03DD
	v_cvt_pk_f16_f32 v173, v22, v23                            // 00000000C1F8: D26700AD 00022F16
	v_mov_b32_e32 v22, v222                                    // 00000000C200: 7E2C03DE
	v_mov_b32_e32 v23, v223                                    // 00000000C204: 7E2E03DF
	v_cvt_pk_f16_f32 v174, v22, v23                            // 00000000C208: D26700AE 00022F16
	v_mov_b32_e32 v22, v224                                    // 00000000C210: 7E2C03E0
	v_mov_b32_e32 v23, v225                                    // 00000000C214: 7E2E03E1
	v_cvt_pk_f16_f32 v175, v22, v23                            // 00000000C218: D26700AF 00022F16
	v_mov_b32_e32 v22, v226                                    // 00000000C220: 7E2C03E2
	v_mov_b32_e32 v23, v227                                    // 00000000C224: 7E2E03E3
	v_cvt_pk_f16_f32 v176, v22, v23                            // 00000000C228: D26700B0 00022F16
	v_mov_b32_e32 v22, v228                                    // 00000000C230: 7E2C03E4
	v_mov_b32_e32 v23, v229                                    // 00000000C234: 7E2E03E5
	v_cvt_pk_f16_f32 v177, v22, v23                            // 00000000C238: D26700B1 00022F16
	v_mov_b32_e32 v22, v230                                    // 00000000C240: 7E2C03E6
	v_mov_b32_e32 v23, v231                                    // 00000000C244: 7E2E03E7
	v_cvt_pk_f16_f32 v178, v22, v23                            // 00000000C248: D26700B2 00022F16
	v_mov_b32_e32 v22, v232                                    // 00000000C250: 7E2C03E8
	v_mov_b32_e32 v23, v233                                    // 00000000C254: 7E2E03E9
	v_cvt_pk_f16_f32 v179, v22, v23                            // 00000000C258: D26700B3 00022F16
	v_mov_b32_e32 v22, v234                                    // 00000000C260: 7E2C03EA
	v_mov_b32_e32 v23, v235                                    // 00000000C264: 7E2E03EB
	v_cvt_pk_f16_f32 v180, v22, v23                            // 00000000C268: D26700B4 00022F16
	v_mov_b32_e32 v22, v236                                    // 00000000C270: 7E2C03EC
	v_mov_b32_e32 v23, v237                                    // 00000000C274: 7E2E03ED
	v_cvt_pk_f16_f32 v181, v22, v23                            // 00000000C278: D26700B5 00022F16
	v_mov_b32_e32 v22, v238                                    // 00000000C280: 7E2C03EE
	v_mov_b32_e32 v23, v239                                    // 00000000C284: 7E2E03EF
	v_cvt_pk_f16_f32 v182, v22, v23                            // 00000000C288: D26700B6 00022F16
	v_mov_b32_e32 v22, v240                                    // 00000000C290: 7E2C03F0
	v_mov_b32_e32 v23, v241                                    // 00000000C294: 7E2E03F1
	v_cvt_pk_f16_f32 v183, v22, v23                            // 00000000C298: D26700B7 00022F16
	v_mov_b32_e32 v22, v242                                    // 00000000C2A0: 7E2C03F2
	v_mov_b32_e32 v23, v243                                    // 00000000C2A4: 7E2E03F3
	v_cvt_pk_f16_f32 v184, v22, v23                            // 00000000C2A8: D26700B8 00022F16
	v_mov_b32_e32 v22, v244                                    // 00000000C2B0: 7E2C03F4
	v_mov_b32_e32 v23, v245                                    // 00000000C2B4: 7E2E03F5
	v_cvt_pk_f16_f32 v185, v22, v23                            // 00000000C2B8: D26700B9 00022F16
	v_mov_b32_e32 v22, v246                                    // 00000000C2C0: 7E2C03F6
	v_mov_b32_e32 v23, v247                                    // 00000000C2C4: 7E2E03F7
	v_cvt_pk_f16_f32 v186, v22, v23                            // 00000000C2C8: D26700BA 00022F16
	v_mov_b32_e32 v22, v248                                    // 00000000C2D0: 7E2C03F8
	v_mov_b32_e32 v23, v249                                    // 00000000C2D4: 7E2E03F9
	v_cvt_pk_f16_f32 v187, v22, v23                            // 00000000C2D8: D26700BB 00022F16
	v_mov_b32_e32 v22, v250                                    // 00000000C2E0: 7E2C03FA
	v_mov_b32_e32 v23, v251                                    // 00000000C2E4: 7E2E03FB
	v_cvt_pk_f16_f32 v188, v22, v23                            // 00000000C2E8: D26700BC 00022F16
	v_mov_b32_e32 v22, v252                                    // 00000000C2F0: 7E2C03FC
	v_mov_b32_e32 v23, v253                                    // 00000000C2F4: 7E2E03FD
	v_cvt_pk_f16_f32 v189, v22, v23                            // 00000000C2F8: D26700BD 00022F16
	ds_write_b64 v18, v[158:159] offset:33792                  // 00000000C300: D89A8400 00009E12
	ds_write_b64 v18, v[160:161] offset:34320                  // 00000000C308: D89A8610 0000A012
	ds_write_b64 v18, v[162:163] offset:34848                  // 00000000C310: D89A8820 0000A212
	ds_write_b64 v18, v[164:165] offset:35376                  // 00000000C318: D89A8A30 0000A412
	ds_write_b64 v18, v[166:167] offset:35904                  // 00000000C320: D89A8C40 0000A612
	ds_write_b64 v18, v[168:169] offset:36432                  // 00000000C328: D89A8E50 0000A812
	ds_write_b64 v18, v[170:171] offset:36960                  // 00000000C330: D89A9060 0000AA12
	ds_write_b64 v18, v[172:173] offset:37488                  // 00000000C338: D89A9270 0000AC12
	ds_write_b64 v18, v[174:175] offset:38016                  // 00000000C340: D89A9480 0000AE12
	ds_write_b64 v18, v[176:177] offset:38544                  // 00000000C348: D89A9690 0000B012
	ds_write_b64 v18, v[178:179] offset:39072                  // 00000000C350: D89A98A0 0000B212
	ds_write_b64 v18, v[180:181] offset:39600                  // 00000000C358: D89A9AB0 0000B412
	ds_write_b64 v18, v[182:183] offset:40128                  // 00000000C360: D89A9CC0 0000B612
	ds_write_b64 v18, v[184:185] offset:40656                  // 00000000C368: D89A9ED0 0000B812
	ds_write_b64 v18, v[186:187] offset:41184                  // 00000000C370: D89AA0E0 0000BA12
	ds_write_b64 v18, v[188:189] offset:41712                  // 00000000C378: D89AA2F0 0000BC12
	s_waitcnt lgkmcnt(0)                                       // 00000000C380: BF8CC07F
	s_barrier                                                  // 00000000C384: BF8A0000
	ds_read_b64 v[158:159], v17 offset:33792                   // 00000000C388: D8EC8400 9E000011
	ds_read_b64 v[160:161], v17 offset:34048                   // 00000000C390: D8EC8500 A0000011
	ds_read_b64 v[162:163], v17 offset:33824                   // 00000000C398: D8EC8420 A2000011
	ds_read_b64 v[164:165], v17 offset:34080                   // 00000000C3A0: D8EC8520 A4000011
	ds_read_b64 v[166:167], v17 offset:33856                   // 00000000C3A8: D8EC8440 A6000011
	ds_read_b64 v[168:169], v17 offset:34112                   // 00000000C3B0: D8EC8540 A8000011
	ds_read_b64 v[170:171], v17 offset:33888                   // 00000000C3B8: D8EC8460 AA000011
	ds_read_b64 v[172:173], v17 offset:34144                   // 00000000C3C0: D8EC8560 AC000011
	ds_read_b64 v[174:175], v17 offset:33920                   // 00000000C3C8: D8EC8480 AE000011
	ds_read_b64 v[176:177], v17 offset:34176                   // 00000000C3D0: D8EC8580 B0000011
	ds_read_b64 v[178:179], v17 offset:33952                   // 00000000C3D8: D8EC84A0 B2000011
	ds_read_b64 v[180:181], v17 offset:34208                   // 00000000C3E0: D8EC85A0 B4000011
	ds_read_b64 v[182:183], v17 offset:33984                   // 00000000C3E8: D8EC84C0 B6000011
	ds_read_b64 v[184:185], v17 offset:34240                   // 00000000C3F0: D8EC85C0 B8000011
	ds_read_b64 v[186:187], v17 offset:34016                   // 00000000C3F8: D8EC84E0 BA000011
	ds_read_b64 v[188:189], v17 offset:34272                   // 00000000C400: D8EC85E0 BC000011
	s_waitcnt lgkmcnt(0)                                       // 00000000C408: BF8CC07F
	s_mov_b32 s70, s53                                         // 00000000C40C: BEC60035
	s_mov_b64 exec, s[44:45]                                   // 00000000C410: BEFE012C
	buffer_store_dwordx4 v[158:161], v3, s[40:43], 0 idxen     // 00000000C414: E07C2000 800A9E03
	s_mov_b64 exec, s[100:101]                                 // 00000000C41C: BEFE0164
	v_add_u32_e32 v3, s70, v3                                  // 00000000C420: 68060646
	s_mov_b64 exec, s[44:45]                                   // 00000000C424: BEFE012C
	buffer_store_dwordx4 v[162:165], v3, s[40:43], 0 idxen     // 00000000C428: E07C2000 800AA203
	s_mov_b64 exec, s[100:101]                                 // 00000000C430: BEFE0164
	v_add_u32_e32 v3, s70, v3                                  // 00000000C434: 68060646
	s_mov_b64 exec, s[44:45]                                   // 00000000C438: BEFE012C
	buffer_store_dwordx4 v[166:169], v3, s[40:43], 0 idxen     // 00000000C43C: E07C2000 800AA603
	s_mov_b64 exec, s[100:101]                                 // 00000000C444: BEFE0164
	v_add_u32_e32 v3, s70, v3                                  // 00000000C448: 68060646
	s_mov_b64 exec, s[44:45]                                   // 00000000C44C: BEFE012C
	buffer_store_dwordx4 v[170:173], v3, s[40:43], 0 idxen     // 00000000C450: E07C2000 800AAA03
	s_mov_b64 exec, s[100:101]                                 // 00000000C458: BEFE0164
	v_add_u32_e32 v3, s70, v3                                  // 00000000C45C: 68060646
	s_mul_i32 s60, 12, s70                                     // 00000000C460: 923C468C
	v_add_u32_e32 v3, s60, v3                                  // 00000000C464: 6806063C
	s_mov_b64 exec, s[44:45]                                   // 00000000C468: BEFE012C
	buffer_store_dwordx4 v[174:177], v3, s[40:43], 0 idxen     // 00000000C46C: E07C2000 800AAE03
	s_mov_b64 exec, s[100:101]                                 // 00000000C474: BEFE0164
	v_add_u32_e32 v3, s70, v3                                  // 00000000C478: 68060646
	s_mov_b64 exec, s[44:45]                                   // 00000000C47C: BEFE012C
	buffer_store_dwordx4 v[178:181], v3, s[40:43], 0 idxen     // 00000000C480: E07C2000 800AB203
	s_mov_b64 exec, s[100:101]                                 // 00000000C488: BEFE0164
	v_add_u32_e32 v3, s70, v3                                  // 00000000C48C: 68060646
	s_mov_b64 exec, s[44:45]                                   // 00000000C490: BEFE012C
	buffer_store_dwordx4 v[182:185], v3, s[40:43], 0 idxen     // 00000000C494: E07C2000 800AB603
	s_mov_b64 exec, s[100:101]                                 // 00000000C49C: BEFE0164
	v_add_u32_e32 v3, s70, v3                                  // 00000000C4A0: 68060646
	s_mov_b64 exec, s[44:45]                                   // 00000000C4A4: BEFE012C
	buffer_store_dwordx4 v[186:189], v3, s[40:43], 0 idxen     // 00000000C4A8: E07C2000 800ABA03
	s_mov_b64 exec, s[100:101]                                 // 00000000C4B0: BEFE0164
	v_add_u32_e32 v3, s70, v3                                  // 00000000C4B4: 68060646
	s_mul_i32 s60, 12, s70                                     // 00000000C4B8: 923C468C
	v_add_u32_e32 v3, s60, v3                                  // 00000000C4BC: 6806063C
	s_barrier                                                  // 00000000C4C0: BF8A0000
	s_cmp_ge_i32 2, s72                                        // 00000000C4C4: BF034882
	s_cbranch_scc1 label_215B                                  // 00000000C4C8: BF850000

000000000000c4cc <label_215B>:
	v_accvgpr_read_b32 v22, a128                               // 00000000C4CC: D3D84016 18000180
	v_accvgpr_read_b32 v23, a129                               // 00000000C4D4: D3D84017 18000181
	v_mul_f32_e32 v22, s47, v22                                // 00000000C4DC: 0A2C2C2F
	v_mul_f32_e32 v23, s47, v23                                // 00000000C4E0: 0A2E2E2F
	v_cvt_pk_f16_f32 v126, v22, v23                            // 00000000C4E4: D267007E 00022F16
	v_accvgpr_read_b32 v22, a130                               // 00000000C4EC: D3D84016 18000182
	v_accvgpr_read_b32 v23, a131                               // 00000000C4F4: D3D84017 18000183
	v_mul_f32_e32 v22, s47, v22                                // 00000000C4FC: 0A2C2C2F
	v_mul_f32_e32 v23, s47, v23                                // 00000000C500: 0A2E2E2F
	v_cvt_pk_f16_f32 v127, v22, v23                            // 00000000C504: D267007F 00022F16
	v_accvgpr_read_b32 v22, a132                               // 00000000C50C: D3D84016 18000184
	v_accvgpr_read_b32 v23, a133                               // 00000000C514: D3D84017 18000185
	v_mul_f32_e32 v22, s47, v22                                // 00000000C51C: 0A2C2C2F
	v_mul_f32_e32 v23, s47, v23                                // 00000000C520: 0A2E2E2F
	v_cvt_pk_f16_f32 v128, v22, v23                            // 00000000C524: D2670080 00022F16
	v_accvgpr_read_b32 v22, a134                               // 00000000C52C: D3D84016 18000186
	v_accvgpr_read_b32 v23, a135                               // 00000000C534: D3D84017 18000187
	v_mul_f32_e32 v22, s47, v22                                // 00000000C53C: 0A2C2C2F
	v_mul_f32_e32 v23, s47, v23                                // 00000000C540: 0A2E2E2F
	v_cvt_pk_f16_f32 v129, v22, v23                            // 00000000C544: D2670081 00022F16
	v_accvgpr_read_b32 v22, a136                               // 00000000C54C: D3D84016 18000188
	v_accvgpr_read_b32 v23, a137                               // 00000000C554: D3D84017 18000189
	v_mul_f32_e32 v22, s47, v22                                // 00000000C55C: 0A2C2C2F
	v_mul_f32_e32 v23, s47, v23                                // 00000000C560: 0A2E2E2F
	v_cvt_pk_f16_f32 v130, v22, v23                            // 00000000C564: D2670082 00022F16
	v_accvgpr_read_b32 v22, a138                               // 00000000C56C: D3D84016 1800018A
	v_accvgpr_read_b32 v23, a139                               // 00000000C574: D3D84017 1800018B
	v_mul_f32_e32 v22, s47, v22                                // 00000000C57C: 0A2C2C2F
	v_mul_f32_e32 v23, s47, v23                                // 00000000C580: 0A2E2E2F
	v_cvt_pk_f16_f32 v131, v22, v23                            // 00000000C584: D2670083 00022F16
	v_accvgpr_read_b32 v22, a140                               // 00000000C58C: D3D84016 1800018C
	v_accvgpr_read_b32 v23, a141                               // 00000000C594: D3D84017 1800018D
	v_mul_f32_e32 v22, s47, v22                                // 00000000C59C: 0A2C2C2F
	v_mul_f32_e32 v23, s47, v23                                // 00000000C5A0: 0A2E2E2F
	v_cvt_pk_f16_f32 v132, v22, v23                            // 00000000C5A4: D2670084 00022F16
	v_accvgpr_read_b32 v22, a142                               // 00000000C5AC: D3D84016 1800018E
	v_accvgpr_read_b32 v23, a143                               // 00000000C5B4: D3D84017 1800018F
	v_mul_f32_e32 v22, s47, v22                                // 00000000C5BC: 0A2C2C2F
	v_mul_f32_e32 v23, s47, v23                                // 00000000C5C0: 0A2E2E2F
	v_cvt_pk_f16_f32 v133, v22, v23                            // 00000000C5C4: D2670085 00022F16
	v_accvgpr_read_b32 v22, a144                               // 00000000C5CC: D3D84016 18000190
	v_accvgpr_read_b32 v23, a145                               // 00000000C5D4: D3D84017 18000191
	v_mul_f32_e32 v22, s47, v22                                // 00000000C5DC: 0A2C2C2F
	v_mul_f32_e32 v23, s47, v23                                // 00000000C5E0: 0A2E2E2F
	v_cvt_pk_f16_f32 v134, v22, v23                            // 00000000C5E4: D2670086 00022F16
	v_accvgpr_read_b32 v22, a146                               // 00000000C5EC: D3D84016 18000192
	v_accvgpr_read_b32 v23, a147                               // 00000000C5F4: D3D84017 18000193
	v_mul_f32_e32 v22, s47, v22                                // 00000000C5FC: 0A2C2C2F
	v_mul_f32_e32 v23, s47, v23                                // 00000000C600: 0A2E2E2F
	v_cvt_pk_f16_f32 v135, v22, v23                            // 00000000C604: D2670087 00022F16
	v_accvgpr_read_b32 v22, a148                               // 00000000C60C: D3D84016 18000194
	v_accvgpr_read_b32 v23, a149                               // 00000000C614: D3D84017 18000195
	v_mul_f32_e32 v22, s47, v22                                // 00000000C61C: 0A2C2C2F
	v_mul_f32_e32 v23, s47, v23                                // 00000000C620: 0A2E2E2F
	v_cvt_pk_f16_f32 v136, v22, v23                            // 00000000C624: D2670088 00022F16
	v_accvgpr_read_b32 v22, a150                               // 00000000C62C: D3D84016 18000196
	v_accvgpr_read_b32 v23, a151                               // 00000000C634: D3D84017 18000197
	v_mul_f32_e32 v22, s47, v22                                // 00000000C63C: 0A2C2C2F
	v_mul_f32_e32 v23, s47, v23                                // 00000000C640: 0A2E2E2F
	v_cvt_pk_f16_f32 v137, v22, v23                            // 00000000C644: D2670089 00022F16
	v_accvgpr_read_b32 v22, a152                               // 00000000C64C: D3D84016 18000198
	v_accvgpr_read_b32 v23, a153                               // 00000000C654: D3D84017 18000199
	v_mul_f32_e32 v22, s47, v22                                // 00000000C65C: 0A2C2C2F
	v_mul_f32_e32 v23, s47, v23                                // 00000000C660: 0A2E2E2F
	v_cvt_pk_f16_f32 v138, v22, v23                            // 00000000C664: D267008A 00022F16
	v_accvgpr_read_b32 v22, a154                               // 00000000C66C: D3D84016 1800019A
	v_accvgpr_read_b32 v23, a155                               // 00000000C674: D3D84017 1800019B
	v_mul_f32_e32 v22, s47, v22                                // 00000000C67C: 0A2C2C2F
	v_mul_f32_e32 v23, s47, v23                                // 00000000C680: 0A2E2E2F
	v_cvt_pk_f16_f32 v139, v22, v23                            // 00000000C684: D267008B 00022F16
	v_accvgpr_read_b32 v22, a156                               // 00000000C68C: D3D84016 1800019C
	v_accvgpr_read_b32 v23, a157                               // 00000000C694: D3D84017 1800019D
	v_mul_f32_e32 v22, s47, v22                                // 00000000C69C: 0A2C2C2F
	v_mul_f32_e32 v23, s47, v23                                // 00000000C6A0: 0A2E2E2F
	v_cvt_pk_f16_f32 v140, v22, v23                            // 00000000C6A4: D267008C 00022F16
	v_accvgpr_read_b32 v22, a158                               // 00000000C6AC: D3D84016 1800019E
	v_accvgpr_read_b32 v23, a159                               // 00000000C6B4: D3D84017 1800019F
	v_mul_f32_e32 v22, s47, v22                                // 00000000C6BC: 0A2C2C2F
	v_mul_f32_e32 v23, s47, v23                                // 00000000C6C0: 0A2E2E2F
	v_cvt_pk_f16_f32 v141, v22, v23                            // 00000000C6C4: D267008D 00022F16
	v_accvgpr_read_b32 v22, a160                               // 00000000C6CC: D3D84016 180001A0
	v_accvgpr_read_b32 v23, a161                               // 00000000C6D4: D3D84017 180001A1
	v_mul_f32_e32 v22, s47, v22                                // 00000000C6DC: 0A2C2C2F
	v_mul_f32_e32 v23, s47, v23                                // 00000000C6E0: 0A2E2E2F
	v_cvt_pk_f16_f32 v142, v22, v23                            // 00000000C6E4: D267008E 00022F16
	v_accvgpr_read_b32 v22, a162                               // 00000000C6EC: D3D84016 180001A2
	v_accvgpr_read_b32 v23, a163                               // 00000000C6F4: D3D84017 180001A3
	v_mul_f32_e32 v22, s47, v22                                // 00000000C6FC: 0A2C2C2F
	v_mul_f32_e32 v23, s47, v23                                // 00000000C700: 0A2E2E2F
	v_cvt_pk_f16_f32 v143, v22, v23                            // 00000000C704: D267008F 00022F16
	v_accvgpr_read_b32 v22, a164                               // 00000000C70C: D3D84016 180001A4
	v_accvgpr_read_b32 v23, a165                               // 00000000C714: D3D84017 180001A5
	v_mul_f32_e32 v22, s47, v22                                // 00000000C71C: 0A2C2C2F
	v_mul_f32_e32 v23, s47, v23                                // 00000000C720: 0A2E2E2F
	v_cvt_pk_f16_f32 v144, v22, v23                            // 00000000C724: D2670090 00022F16
	v_accvgpr_read_b32 v22, a166                               // 00000000C72C: D3D84016 180001A6
	v_accvgpr_read_b32 v23, a167                               // 00000000C734: D3D84017 180001A7
	v_mul_f32_e32 v22, s47, v22                                // 00000000C73C: 0A2C2C2F
	v_mul_f32_e32 v23, s47, v23                                // 00000000C740: 0A2E2E2F
	v_cvt_pk_f16_f32 v145, v22, v23                            // 00000000C744: D2670091 00022F16
	v_accvgpr_read_b32 v22, a168                               // 00000000C74C: D3D84016 180001A8
	v_accvgpr_read_b32 v23, a169                               // 00000000C754: D3D84017 180001A9
	v_mul_f32_e32 v22, s47, v22                                // 00000000C75C: 0A2C2C2F
	v_mul_f32_e32 v23, s47, v23                                // 00000000C760: 0A2E2E2F
	v_cvt_pk_f16_f32 v146, v22, v23                            // 00000000C764: D2670092 00022F16
	v_accvgpr_read_b32 v22, a170                               // 00000000C76C: D3D84016 180001AA
	v_accvgpr_read_b32 v23, a171                               // 00000000C774: D3D84017 180001AB
	v_mul_f32_e32 v22, s47, v22                                // 00000000C77C: 0A2C2C2F
	v_mul_f32_e32 v23, s47, v23                                // 00000000C780: 0A2E2E2F
	v_cvt_pk_f16_f32 v147, v22, v23                            // 00000000C784: D2670093 00022F16
	v_accvgpr_read_b32 v22, a172                               // 00000000C78C: D3D84016 180001AC
	v_accvgpr_read_b32 v23, a173                               // 00000000C794: D3D84017 180001AD
	v_mul_f32_e32 v22, s47, v22                                // 00000000C79C: 0A2C2C2F
	v_mul_f32_e32 v23, s47, v23                                // 00000000C7A0: 0A2E2E2F
	v_cvt_pk_f16_f32 v148, v22, v23                            // 00000000C7A4: D2670094 00022F16
	v_accvgpr_read_b32 v22, a174                               // 00000000C7AC: D3D84016 180001AE
	v_accvgpr_read_b32 v23, a175                               // 00000000C7B4: D3D84017 180001AF
	v_mul_f32_e32 v22, s47, v22                                // 00000000C7BC: 0A2C2C2F
	v_mul_f32_e32 v23, s47, v23                                // 00000000C7C0: 0A2E2E2F
	v_cvt_pk_f16_f32 v149, v22, v23                            // 00000000C7C4: D2670095 00022F16
	v_accvgpr_read_b32 v22, a176                               // 00000000C7CC: D3D84016 180001B0
	v_accvgpr_read_b32 v23, a177                               // 00000000C7D4: D3D84017 180001B1
	v_mul_f32_e32 v22, s47, v22                                // 00000000C7DC: 0A2C2C2F
	v_mul_f32_e32 v23, s47, v23                                // 00000000C7E0: 0A2E2E2F
	v_cvt_pk_f16_f32 v150, v22, v23                            // 00000000C7E4: D2670096 00022F16
	v_accvgpr_read_b32 v22, a178                               // 00000000C7EC: D3D84016 180001B2
	v_accvgpr_read_b32 v23, a179                               // 00000000C7F4: D3D84017 180001B3
	v_mul_f32_e32 v22, s47, v22                                // 00000000C7FC: 0A2C2C2F
	v_mul_f32_e32 v23, s47, v23                                // 00000000C800: 0A2E2E2F
	v_cvt_pk_f16_f32 v151, v22, v23                            // 00000000C804: D2670097 00022F16
	v_accvgpr_read_b32 v22, a180                               // 00000000C80C: D3D84016 180001B4
	v_accvgpr_read_b32 v23, a181                               // 00000000C814: D3D84017 180001B5
	v_mul_f32_e32 v22, s47, v22                                // 00000000C81C: 0A2C2C2F
	v_mul_f32_e32 v23, s47, v23                                // 00000000C820: 0A2E2E2F
	v_cvt_pk_f16_f32 v152, v22, v23                            // 00000000C824: D2670098 00022F16
	v_accvgpr_read_b32 v22, a182                               // 00000000C82C: D3D84016 180001B6
	v_accvgpr_read_b32 v23, a183                               // 00000000C834: D3D84017 180001B7
	v_mul_f32_e32 v22, s47, v22                                // 00000000C83C: 0A2C2C2F
	v_mul_f32_e32 v23, s47, v23                                // 00000000C840: 0A2E2E2F
	v_cvt_pk_f16_f32 v153, v22, v23                            // 00000000C844: D2670099 00022F16
	v_accvgpr_read_b32 v22, a184                               // 00000000C84C: D3D84016 180001B8
	v_accvgpr_read_b32 v23, a185                               // 00000000C854: D3D84017 180001B9
	v_mul_f32_e32 v22, s47, v22                                // 00000000C85C: 0A2C2C2F
	v_mul_f32_e32 v23, s47, v23                                // 00000000C860: 0A2E2E2F
	v_cvt_pk_f16_f32 v154, v22, v23                            // 00000000C864: D267009A 00022F16
	v_accvgpr_read_b32 v22, a186                               // 00000000C86C: D3D84016 180001BA
	v_accvgpr_read_b32 v23, a187                               // 00000000C874: D3D84017 180001BB
	v_mul_f32_e32 v22, s47, v22                                // 00000000C87C: 0A2C2C2F
	v_mul_f32_e32 v23, s47, v23                                // 00000000C880: 0A2E2E2F
	v_cvt_pk_f16_f32 v155, v22, v23                            // 00000000C884: D267009B 00022F16
	v_accvgpr_read_b32 v22, a188                               // 00000000C88C: D3D84016 180001BC
	v_accvgpr_read_b32 v23, a189                               // 00000000C894: D3D84017 180001BD
	v_mul_f32_e32 v22, s47, v22                                // 00000000C89C: 0A2C2C2F
	v_mul_f32_e32 v23, s47, v23                                // 00000000C8A0: 0A2E2E2F
	v_cvt_pk_f16_f32 v156, v22, v23                            // 00000000C8A4: D267009C 00022F16
	v_accvgpr_read_b32 v22, a190                               // 00000000C8AC: D3D84016 180001BE
	v_accvgpr_read_b32 v23, a191                               // 00000000C8B4: D3D84017 180001BF
	v_mul_f32_e32 v22, s47, v22                                // 00000000C8BC: 0A2C2C2F
	v_mul_f32_e32 v23, s47, v23                                // 00000000C8C0: 0A2E2E2F
	v_cvt_pk_f16_f32 v157, v22, v23                            // 00000000C8C4: D267009D 00022F16
	ds_write_b64 v18, v[126:127]                               // 00000000C8CC: D89A0000 00007E12
	ds_write_b64 v18, v[128:129] offset:528                    // 00000000C8D4: D89A0210 00008012
	ds_write_b64 v18, v[130:131] offset:1056                   // 00000000C8DC: D89A0420 00008212
	ds_write_b64 v18, v[132:133] offset:1584                   // 00000000C8E4: D89A0630 00008412
	ds_write_b64 v18, v[134:135] offset:2112                   // 00000000C8EC: D89A0840 00008612
	ds_write_b64 v18, v[136:137] offset:2640                   // 00000000C8F4: D89A0A50 00008812
	ds_write_b64 v18, v[138:139] offset:3168                   // 00000000C8FC: D89A0C60 00008A12
	ds_write_b64 v18, v[140:141] offset:3696                   // 00000000C904: D89A0E70 00008C12
	ds_write_b64 v18, v[142:143] offset:4224                   // 00000000C90C: D89A1080 00008E12
	ds_write_b64 v18, v[144:145] offset:4752                   // 00000000C914: D89A1290 00009012
	ds_write_b64 v18, v[146:147] offset:5280                   // 00000000C91C: D89A14A0 00009212
	ds_write_b64 v18, v[148:149] offset:5808                   // 00000000C924: D89A16B0 00009412
	ds_write_b64 v18, v[150:151] offset:6336                   // 00000000C92C: D89A18C0 00009612
	ds_write_b64 v18, v[152:153] offset:6864                   // 00000000C934: D89A1AD0 00009812
	ds_write_b64 v18, v[154:155] offset:7392                   // 00000000C93C: D89A1CE0 00009A12
	ds_write_b64 v18, v[156:157] offset:7920                   // 00000000C944: D89A1EF0 00009C12
	s_waitcnt lgkmcnt(0)                                       // 00000000C94C: BF8CC07F
	s_barrier                                                  // 00000000C950: BF8A0000
	ds_read_b64 v[126:127], v17                                // 00000000C954: D8EC0000 7E000011
	ds_read_b64 v[128:129], v17 offset:256                     // 00000000C95C: D8EC0100 80000011
	ds_read_b64 v[130:131], v17 offset:32                      // 00000000C964: D8EC0020 82000011
	ds_read_b64 v[132:133], v17 offset:288                     // 00000000C96C: D8EC0120 84000011
	ds_read_b64 v[134:135], v17 offset:64                      // 00000000C974: D8EC0040 86000011
	ds_read_b64 v[136:137], v17 offset:320                     // 00000000C97C: D8EC0140 88000011
	ds_read_b64 v[138:139], v17 offset:96                      // 00000000C984: D8EC0060 8A000011
	ds_read_b64 v[140:141], v17 offset:352                     // 00000000C98C: D8EC0160 8C000011
	ds_read_b64 v[142:143], v17 offset:128                     // 00000000C994: D8EC0080 8E000011
	ds_read_b64 v[144:145], v17 offset:384                     // 00000000C99C: D8EC0180 90000011
	ds_read_b64 v[146:147], v17 offset:160                     // 00000000C9A4: D8EC00A0 92000011
	ds_read_b64 v[148:149], v17 offset:416                     // 00000000C9AC: D8EC01A0 94000011
	ds_read_b64 v[150:151], v17 offset:192                     // 00000000C9B4: D8EC00C0 96000011
	ds_read_b64 v[152:153], v17 offset:448                     // 00000000C9BC: D8EC01C0 98000011
	ds_read_b64 v[154:155], v17 offset:224                     // 00000000C9C4: D8EC00E0 9A000011
	ds_read_b64 v[156:157], v17 offset:480                     // 00000000C9CC: D8EC01E0 9C000011
	s_waitcnt lgkmcnt(0)                                       // 00000000C9D4: BF8CC07F
	s_mov_b32 s70, s52                                         // 00000000C9D8: BEC60034
	s_mov_b64 exec, s[44:45]                                   // 00000000C9DC: BEFE012C
	buffer_store_dwordx4 v[126:129], v2, s[36:39], 0 idxen     // 00000000C9E0: E07C2000 80097E02
	s_mov_b64 exec, s[100:101]                                 // 00000000C9E8: BEFE0164
	v_add_u32_e32 v2, s70, v2                                  // 00000000C9EC: 68040446
	s_mov_b64 exec, s[44:45]                                   // 00000000C9F0: BEFE012C
	buffer_store_dwordx4 v[130:133], v2, s[36:39], 0 idxen     // 00000000C9F4: E07C2000 80098202
	s_mov_b64 exec, s[100:101]                                 // 00000000C9FC: BEFE0164
	v_add_u32_e32 v2, s70, v2                                  // 00000000CA00: 68040446
	s_mov_b64 exec, s[44:45]                                   // 00000000CA04: BEFE012C
	buffer_store_dwordx4 v[134:137], v2, s[36:39], 0 idxen     // 00000000CA08: E07C2000 80098602
	s_mov_b64 exec, s[100:101]                                 // 00000000CA10: BEFE0164
	v_add_u32_e32 v2, s70, v2                                  // 00000000CA14: 68040446
	s_mov_b64 exec, s[44:45]                                   // 00000000CA18: BEFE012C
	buffer_store_dwordx4 v[138:141], v2, s[36:39], 0 idxen     // 00000000CA1C: E07C2000 80098A02
	s_mov_b64 exec, s[100:101]                                 // 00000000CA24: BEFE0164
	v_add_u32_e32 v2, s70, v2                                  // 00000000CA28: 68040446
	s_mul_i32 s60, 12, s70                                     // 00000000CA2C: 923C468C
	v_add_u32_e32 v2, s60, v2                                  // 00000000CA30: 6804043C
	s_mov_b64 exec, s[44:45]                                   // 00000000CA34: BEFE012C
	buffer_store_dwordx4 v[142:145], v2, s[36:39], 0 idxen     // 00000000CA38: E07C2000 80098E02
	s_mov_b64 exec, s[100:101]                                 // 00000000CA40: BEFE0164
	v_add_u32_e32 v2, s70, v2                                  // 00000000CA44: 68040446
	s_mov_b64 exec, s[44:45]                                   // 00000000CA48: BEFE012C
	buffer_store_dwordx4 v[146:149], v2, s[36:39], 0 idxen     // 00000000CA4C: E07C2000 80099202
	s_mov_b64 exec, s[100:101]                                 // 00000000CA54: BEFE0164
	v_add_u32_e32 v2, s70, v2                                  // 00000000CA58: 68040446
	s_mov_b64 exec, s[44:45]                                   // 00000000CA5C: BEFE012C
	buffer_store_dwordx4 v[150:153], v2, s[36:39], 0 idxen     // 00000000CA60: E07C2000 80099602
	s_mov_b64 exec, s[100:101]                                 // 00000000CA68: BEFE0164
	v_add_u32_e32 v2, s70, v2                                  // 00000000CA6C: 68040446
	s_mov_b64 exec, s[44:45]                                   // 00000000CA70: BEFE012C
	buffer_store_dwordx4 v[154:157], v2, s[36:39], 0 idxen     // 00000000CA74: E07C2000 80099A02
	s_mov_b64 exec, s[100:101]                                 // 00000000CA7C: BEFE0164
	v_add_u32_e32 v2, s70, v2                                  // 00000000CA80: 68040446
	s_mul_i32 s60, 12, s70                                     // 00000000CA84: 923C468C
	v_add_u32_e32 v2, s60, v2                                  // 00000000CA88: 6804043C
	s_cmp_ge_i32 1, s72                                        // 00000000CA8C: BF034881
	s_cbranch_scc1 label_243F                                  // 00000000CA90: BF850172
	v_accvgpr_read_b32 v22, a192                               // 00000000CA94: D3D84016 180001C0
	v_accvgpr_read_b32 v23, a193                               // 00000000CA9C: D3D84017 180001C1
	v_mul_f32_e32 v22, s47, v22                                // 00000000CAA4: 0A2C2C2F
	v_mul_f32_e32 v23, s47, v23                                // 00000000CAA8: 0A2E2E2F
	v_cvt_pk_f16_f32 v158, v22, v23                            // 00000000CAAC: D267009E 00022F16
	v_accvgpr_read_b32 v22, a194                               // 00000000CAB4: D3D84016 180001C2
	v_accvgpr_read_b32 v23, a195                               // 00000000CABC: D3D84017 180001C3
	v_mul_f32_e32 v22, s47, v22                                // 00000000CAC4: 0A2C2C2F
	v_mul_f32_e32 v23, s47, v23                                // 00000000CAC8: 0A2E2E2F
	v_cvt_pk_f16_f32 v159, v22, v23                            // 00000000CACC: D267009F 00022F16
	v_accvgpr_read_b32 v22, a196                               // 00000000CAD4: D3D84016 180001C4
	v_accvgpr_read_b32 v23, a197                               // 00000000CADC: D3D84017 180001C5
	v_mul_f32_e32 v22, s47, v22                                // 00000000CAE4: 0A2C2C2F
	v_mul_f32_e32 v23, s47, v23                                // 00000000CAE8: 0A2E2E2F
	v_cvt_pk_f16_f32 v160, v22, v23                            // 00000000CAEC: D26700A0 00022F16
	v_accvgpr_read_b32 v22, a198                               // 00000000CAF4: D3D84016 180001C6
	v_accvgpr_read_b32 v23, a199                               // 00000000CAFC: D3D84017 180001C7
	v_mul_f32_e32 v22, s47, v22                                // 00000000CB04: 0A2C2C2F
	v_mul_f32_e32 v23, s47, v23                                // 00000000CB08: 0A2E2E2F
	v_cvt_pk_f16_f32 v161, v22, v23                            // 00000000CB0C: D26700A1 00022F16
	v_accvgpr_read_b32 v22, a200                               // 00000000CB14: D3D84016 180001C8
	v_accvgpr_read_b32 v23, a201                               // 00000000CB1C: D3D84017 180001C9
	v_mul_f32_e32 v22, s47, v22                                // 00000000CB24: 0A2C2C2F
	v_mul_f32_e32 v23, s47, v23                                // 00000000CB28: 0A2E2E2F
	v_cvt_pk_f16_f32 v162, v22, v23                            // 00000000CB2C: D26700A2 00022F16
	v_accvgpr_read_b32 v22, a202                               // 00000000CB34: D3D84016 180001CA
	v_accvgpr_read_b32 v23, a203                               // 00000000CB3C: D3D84017 180001CB
	v_mul_f32_e32 v22, s47, v22                                // 00000000CB44: 0A2C2C2F
	v_mul_f32_e32 v23, s47, v23                                // 00000000CB48: 0A2E2E2F
	v_cvt_pk_f16_f32 v163, v22, v23                            // 00000000CB4C: D26700A3 00022F16
	v_accvgpr_read_b32 v22, a204                               // 00000000CB54: D3D84016 180001CC
	v_accvgpr_read_b32 v23, a205                               // 00000000CB5C: D3D84017 180001CD
	v_mul_f32_e32 v22, s47, v22                                // 00000000CB64: 0A2C2C2F
	v_mul_f32_e32 v23, s47, v23                                // 00000000CB68: 0A2E2E2F
	v_cvt_pk_f16_f32 v164, v22, v23                            // 00000000CB6C: D26700A4 00022F16
	v_accvgpr_read_b32 v22, a206                               // 00000000CB74: D3D84016 180001CE
	v_accvgpr_read_b32 v23, a207                               // 00000000CB7C: D3D84017 180001CF
	v_mul_f32_e32 v22, s47, v22                                // 00000000CB84: 0A2C2C2F
	v_mul_f32_e32 v23, s47, v23                                // 00000000CB88: 0A2E2E2F
	v_cvt_pk_f16_f32 v165, v22, v23                            // 00000000CB8C: D26700A5 00022F16
	v_accvgpr_read_b32 v22, a208                               // 00000000CB94: D3D84016 180001D0
	v_accvgpr_read_b32 v23, a209                               // 00000000CB9C: D3D84017 180001D1
	v_mul_f32_e32 v22, s47, v22                                // 00000000CBA4: 0A2C2C2F
	v_mul_f32_e32 v23, s47, v23                                // 00000000CBA8: 0A2E2E2F
	v_cvt_pk_f16_f32 v166, v22, v23                            // 00000000CBAC: D26700A6 00022F16
	v_accvgpr_read_b32 v22, a210                               // 00000000CBB4: D3D84016 180001D2
	v_accvgpr_read_b32 v23, a211                               // 00000000CBBC: D3D84017 180001D3
	v_mul_f32_e32 v22, s47, v22                                // 00000000CBC4: 0A2C2C2F
	v_mul_f32_e32 v23, s47, v23                                // 00000000CBC8: 0A2E2E2F
	v_cvt_pk_f16_f32 v167, v22, v23                            // 00000000CBCC: D26700A7 00022F16
	v_accvgpr_read_b32 v22, a212                               // 00000000CBD4: D3D84016 180001D4
	v_accvgpr_read_b32 v23, a213                               // 00000000CBDC: D3D84017 180001D5
	v_mul_f32_e32 v22, s47, v22                                // 00000000CBE4: 0A2C2C2F
	v_mul_f32_e32 v23, s47, v23                                // 00000000CBE8: 0A2E2E2F
	v_cvt_pk_f16_f32 v168, v22, v23                            // 00000000CBEC: D26700A8 00022F16
	v_accvgpr_read_b32 v22, a214                               // 00000000CBF4: D3D84016 180001D6
	v_accvgpr_read_b32 v23, a215                               // 00000000CBFC: D3D84017 180001D7
	v_mul_f32_e32 v22, s47, v22                                // 00000000CC04: 0A2C2C2F
	v_mul_f32_e32 v23, s47, v23                                // 00000000CC08: 0A2E2E2F
	v_cvt_pk_f16_f32 v169, v22, v23                            // 00000000CC0C: D26700A9 00022F16
	v_accvgpr_read_b32 v22, a216                               // 00000000CC14: D3D84016 180001D8
	v_accvgpr_read_b32 v23, a217                               // 00000000CC1C: D3D84017 180001D9
	v_mul_f32_e32 v22, s47, v22                                // 00000000CC24: 0A2C2C2F
	v_mul_f32_e32 v23, s47, v23                                // 00000000CC28: 0A2E2E2F
	v_cvt_pk_f16_f32 v170, v22, v23                            // 00000000CC2C: D26700AA 00022F16
	v_accvgpr_read_b32 v22, a218                               // 00000000CC34: D3D84016 180001DA
	v_accvgpr_read_b32 v23, a219                               // 00000000CC3C: D3D84017 180001DB
	v_mul_f32_e32 v22, s47, v22                                // 00000000CC44: 0A2C2C2F
	v_mul_f32_e32 v23, s47, v23                                // 00000000CC48: 0A2E2E2F
	v_cvt_pk_f16_f32 v171, v22, v23                            // 00000000CC4C: D26700AB 00022F16
	v_accvgpr_read_b32 v22, a220                               // 00000000CC54: D3D84016 180001DC
	v_accvgpr_read_b32 v23, a221                               // 00000000CC5C: D3D84017 180001DD
	v_mul_f32_e32 v22, s47, v22                                // 00000000CC64: 0A2C2C2F
	v_mul_f32_e32 v23, s47, v23                                // 00000000CC68: 0A2E2E2F
	v_cvt_pk_f16_f32 v172, v22, v23                            // 00000000CC6C: D26700AC 00022F16
	v_accvgpr_read_b32 v22, a222                               // 00000000CC74: D3D84016 180001DE
	v_accvgpr_read_b32 v23, a223                               // 00000000CC7C: D3D84017 180001DF
	v_mul_f32_e32 v22, s47, v22                                // 00000000CC84: 0A2C2C2F
	v_mul_f32_e32 v23, s47, v23                                // 00000000CC88: 0A2E2E2F
	v_cvt_pk_f16_f32 v173, v22, v23                            // 00000000CC8C: D26700AD 00022F16
	v_accvgpr_read_b32 v22, a224                               // 00000000CC94: D3D84016 180001E0
	v_accvgpr_read_b32 v23, a225                               // 00000000CC9C: D3D84017 180001E1
	v_mul_f32_e32 v22, s47, v22                                // 00000000CCA4: 0A2C2C2F
	v_mul_f32_e32 v23, s47, v23                                // 00000000CCA8: 0A2E2E2F
	v_cvt_pk_f16_f32 v174, v22, v23                            // 00000000CCAC: D26700AE 00022F16
	v_accvgpr_read_b32 v22, a226                               // 00000000CCB4: D3D84016 180001E2
	v_accvgpr_read_b32 v23, a227                               // 00000000CCBC: D3D84017 180001E3
	v_mul_f32_e32 v22, s47, v22                                // 00000000CCC4: 0A2C2C2F
	v_mul_f32_e32 v23, s47, v23                                // 00000000CCC8: 0A2E2E2F
	v_cvt_pk_f16_f32 v175, v22, v23                            // 00000000CCCC: D26700AF 00022F16
	v_accvgpr_read_b32 v22, a228                               // 00000000CCD4: D3D84016 180001E4
	v_accvgpr_read_b32 v23, a229                               // 00000000CCDC: D3D84017 180001E5
	v_mul_f32_e32 v22, s47, v22                                // 00000000CCE4: 0A2C2C2F
	v_mul_f32_e32 v23, s47, v23                                // 00000000CCE8: 0A2E2E2F
	v_cvt_pk_f16_f32 v176, v22, v23                            // 00000000CCEC: D26700B0 00022F16
	v_accvgpr_read_b32 v22, a230                               // 00000000CCF4: D3D84016 180001E6
	v_accvgpr_read_b32 v23, a231                               // 00000000CCFC: D3D84017 180001E7
	v_mul_f32_e32 v22, s47, v22                                // 00000000CD04: 0A2C2C2F
	v_mul_f32_e32 v23, s47, v23                                // 00000000CD08: 0A2E2E2F
	v_cvt_pk_f16_f32 v177, v22, v23                            // 00000000CD0C: D26700B1 00022F16
	v_accvgpr_read_b32 v22, a232                               // 00000000CD14: D3D84016 180001E8
	v_accvgpr_read_b32 v23, a233                               // 00000000CD1C: D3D84017 180001E9
	v_mul_f32_e32 v22, s47, v22                                // 00000000CD24: 0A2C2C2F
	v_mul_f32_e32 v23, s47, v23                                // 00000000CD28: 0A2E2E2F
	v_cvt_pk_f16_f32 v178, v22, v23                            // 00000000CD2C: D26700B2 00022F16
	v_accvgpr_read_b32 v22, a234                               // 00000000CD34: D3D84016 180001EA
	v_accvgpr_read_b32 v23, a235                               // 00000000CD3C: D3D84017 180001EB
	v_mul_f32_e32 v22, s47, v22                                // 00000000CD44: 0A2C2C2F
	v_mul_f32_e32 v23, s47, v23                                // 00000000CD48: 0A2E2E2F
	v_cvt_pk_f16_f32 v179, v22, v23                            // 00000000CD4C: D26700B3 00022F16
	v_accvgpr_read_b32 v22, a236                               // 00000000CD54: D3D84016 180001EC
	v_accvgpr_read_b32 v23, a237                               // 00000000CD5C: D3D84017 180001ED
	v_mul_f32_e32 v22, s47, v22                                // 00000000CD64: 0A2C2C2F
	v_mul_f32_e32 v23, s47, v23                                // 00000000CD68: 0A2E2E2F
	v_cvt_pk_f16_f32 v180, v22, v23                            // 00000000CD6C: D26700B4 00022F16
	v_accvgpr_read_b32 v22, a238                               // 00000000CD74: D3D84016 180001EE
	v_accvgpr_read_b32 v23, a239                               // 00000000CD7C: D3D84017 180001EF
	v_mul_f32_e32 v22, s47, v22                                // 00000000CD84: 0A2C2C2F
	v_mul_f32_e32 v23, s47, v23                                // 00000000CD88: 0A2E2E2F
	v_cvt_pk_f16_f32 v181, v22, v23                            // 00000000CD8C: D26700B5 00022F16
	v_accvgpr_read_b32 v22, a240                               // 00000000CD94: D3D84016 180001F0
	v_accvgpr_read_b32 v23, a241                               // 00000000CD9C: D3D84017 180001F1
	v_mul_f32_e32 v22, s47, v22                                // 00000000CDA4: 0A2C2C2F
	v_mul_f32_e32 v23, s47, v23                                // 00000000CDA8: 0A2E2E2F
	v_cvt_pk_f16_f32 v182, v22, v23                            // 00000000CDAC: D26700B6 00022F16
	v_accvgpr_read_b32 v22, a242                               // 00000000CDB4: D3D84016 180001F2
	v_accvgpr_read_b32 v23, a243                               // 00000000CDBC: D3D84017 180001F3
	v_mul_f32_e32 v22, s47, v22                                // 00000000CDC4: 0A2C2C2F
	v_mul_f32_e32 v23, s47, v23                                // 00000000CDC8: 0A2E2E2F
	v_cvt_pk_f16_f32 v183, v22, v23                            // 00000000CDCC: D26700B7 00022F16
	v_accvgpr_read_b32 v22, a244                               // 00000000CDD4: D3D84016 180001F4
	v_accvgpr_read_b32 v23, a245                               // 00000000CDDC: D3D84017 180001F5
	v_mul_f32_e32 v22, s47, v22                                // 00000000CDE4: 0A2C2C2F
	v_mul_f32_e32 v23, s47, v23                                // 00000000CDE8: 0A2E2E2F
	v_cvt_pk_f16_f32 v184, v22, v23                            // 00000000CDEC: D26700B8 00022F16
	v_accvgpr_read_b32 v22, a246                               // 00000000CDF4: D3D84016 180001F6
	v_accvgpr_read_b32 v23, a247                               // 00000000CDFC: D3D84017 180001F7
	v_mul_f32_e32 v22, s47, v22                                // 00000000CE04: 0A2C2C2F
	v_mul_f32_e32 v23, s47, v23                                // 00000000CE08: 0A2E2E2F
	v_cvt_pk_f16_f32 v185, v22, v23                            // 00000000CE0C: D26700B9 00022F16
	v_accvgpr_read_b32 v22, a248                               // 00000000CE14: D3D84016 180001F8
	v_accvgpr_read_b32 v23, a249                               // 00000000CE1C: D3D84017 180001F9
	v_mul_f32_e32 v22, s47, v22                                // 00000000CE24: 0A2C2C2F
	v_mul_f32_e32 v23, s47, v23                                // 00000000CE28: 0A2E2E2F
	v_cvt_pk_f16_f32 v186, v22, v23                            // 00000000CE2C: D26700BA 00022F16
	v_accvgpr_read_b32 v22, a250                               // 00000000CE34: D3D84016 180001FA
	v_accvgpr_read_b32 v23, a251                               // 00000000CE3C: D3D84017 180001FB
	v_mul_f32_e32 v22, s47, v22                                // 00000000CE44: 0A2C2C2F
	v_mul_f32_e32 v23, s47, v23                                // 00000000CE48: 0A2E2E2F
	v_cvt_pk_f16_f32 v187, v22, v23                            // 00000000CE4C: D26700BB 00022F16
	v_accvgpr_read_b32 v22, a252                               // 00000000CE54: D3D84016 180001FC
	v_accvgpr_read_b32 v23, a253                               // 00000000CE5C: D3D84017 180001FD
	v_mul_f32_e32 v22, s47, v22                                // 00000000CE64: 0A2C2C2F
	v_mul_f32_e32 v23, s47, v23                                // 00000000CE68: 0A2E2E2F
	v_cvt_pk_f16_f32 v188, v22, v23                            // 00000000CE6C: D26700BC 00022F16
	v_accvgpr_read_b32 v22, a254                               // 00000000CE74: D3D84016 180001FE
	v_accvgpr_read_b32 v23, a255                               // 00000000CE7C: D3D84017 180001FF
	v_mul_f32_e32 v22, s47, v22                                // 00000000CE84: 0A2C2C2F
	v_mul_f32_e32 v23, s47, v23                                // 00000000CE88: 0A2E2E2F
	v_cvt_pk_f16_f32 v189, v22, v23                            // 00000000CE8C: D26700BD 00022F16
	ds_write_b64 v18, v[158:159] offset:33792                  // 00000000CE94: D89A8400 00009E12
	ds_write_b64 v18, v[160:161] offset:34320                  // 00000000CE9C: D89A8610 0000A012
	ds_write_b64 v18, v[162:163] offset:34848                  // 00000000CEA4: D89A8820 0000A212
	ds_write_b64 v18, v[164:165] offset:35376                  // 00000000CEAC: D89A8A30 0000A412
	ds_write_b64 v18, v[166:167] offset:35904                  // 00000000CEB4: D89A8C40 0000A612
	ds_write_b64 v18, v[168:169] offset:36432                  // 00000000CEBC: D89A8E50 0000A812
	ds_write_b64 v18, v[170:171] offset:36960                  // 00000000CEC4: D89A9060 0000AA12
	ds_write_b64 v18, v[172:173] offset:37488                  // 00000000CECC: D89A9270 0000AC12
	ds_write_b64 v18, v[174:175] offset:38016                  // 00000000CED4: D89A9480 0000AE12
	ds_write_b64 v18, v[176:177] offset:38544                  // 00000000CEDC: D89A9690 0000B012
	ds_write_b64 v18, v[178:179] offset:39072                  // 00000000CEE4: D89A98A0 0000B212
	ds_write_b64 v18, v[180:181] offset:39600                  // 00000000CEEC: D89A9AB0 0000B412
	ds_write_b64 v18, v[182:183] offset:40128                  // 00000000CEF4: D89A9CC0 0000B612
	ds_write_b64 v18, v[184:185] offset:40656                  // 00000000CEFC: D89A9ED0 0000B812
	ds_write_b64 v18, v[186:187] offset:41184                  // 00000000CF04: D89AA0E0 0000BA12
	ds_write_b64 v18, v[188:189] offset:41712                  // 00000000CF0C: D89AA2F0 0000BC12
	s_waitcnt lgkmcnt(0)                                       // 00000000CF14: BF8CC07F
	s_barrier                                                  // 00000000CF18: BF8A0000
	ds_read_b64 v[158:159], v17 offset:33792                   // 00000000CF1C: D8EC8400 9E000011
	ds_read_b64 v[160:161], v17 offset:34048                   // 00000000CF24: D8EC8500 A0000011
	ds_read_b64 v[162:163], v17 offset:33824                   // 00000000CF2C: D8EC8420 A2000011
	ds_read_b64 v[164:165], v17 offset:34080                   // 00000000CF34: D8EC8520 A4000011
	ds_read_b64 v[166:167], v17 offset:33856                   // 00000000CF3C: D8EC8440 A6000011
	ds_read_b64 v[168:169], v17 offset:34112                   // 00000000CF44: D8EC8540 A8000011
	ds_read_b64 v[170:171], v17 offset:33888                   // 00000000CF4C: D8EC8460 AA000011
	ds_read_b64 v[172:173], v17 offset:34144                   // 00000000CF54: D8EC8560 AC000011
	ds_read_b64 v[174:175], v17 offset:33920                   // 00000000CF5C: D8EC8480 AE000011
	ds_read_b64 v[176:177], v17 offset:34176                   // 00000000CF64: D8EC8580 B0000011
	ds_read_b64 v[178:179], v17 offset:33952                   // 00000000CF6C: D8EC84A0 B2000011
	ds_read_b64 v[180:181], v17 offset:34208                   // 00000000CF74: D8EC85A0 B4000011
	ds_read_b64 v[182:183], v17 offset:33984                   // 00000000CF7C: D8EC84C0 B6000011
	ds_read_b64 v[184:185], v17 offset:34240                   // 00000000CF84: D8EC85C0 B8000011
	ds_read_b64 v[186:187], v17 offset:34016                   // 00000000CF8C: D8EC84E0 BA000011
	ds_read_b64 v[188:189], v17 offset:34272                   // 00000000CF94: D8EC85E0 BC000011
	s_waitcnt lgkmcnt(0)                                       // 00000000CF9C: BF8CC07F
	s_mov_b32 s70, s52                                         // 00000000CFA0: BEC60034
	s_mov_b64 exec, s[44:45]                                   // 00000000CFA4: BEFE012C
	buffer_store_dwordx4 v[158:161], v2, s[36:39], 0 idxen     // 00000000CFA8: E07C2000 80099E02
	s_mov_b64 exec, s[100:101]                                 // 00000000CFB0: BEFE0164
	v_add_u32_e32 v2, s70, v2                                  // 00000000CFB4: 68040446
	s_mov_b64 exec, s[44:45]                                   // 00000000CFB8: BEFE012C
	buffer_store_dwordx4 v[162:165], v2, s[36:39], 0 idxen     // 00000000CFBC: E07C2000 8009A202
	s_mov_b64 exec, s[100:101]                                 // 00000000CFC4: BEFE0164
	v_add_u32_e32 v2, s70, v2                                  // 00000000CFC8: 68040446
	s_mov_b64 exec, s[44:45]                                   // 00000000CFCC: BEFE012C
	buffer_store_dwordx4 v[166:169], v2, s[36:39], 0 idxen     // 00000000CFD0: E07C2000 8009A602
	s_mov_b64 exec, s[100:101]                                 // 00000000CFD8: BEFE0164
	v_add_u32_e32 v2, s70, v2                                  // 00000000CFDC: 68040446
	s_mov_b64 exec, s[44:45]                                   // 00000000CFE0: BEFE012C
	buffer_store_dwordx4 v[170:173], v2, s[36:39], 0 idxen     // 00000000CFE4: E07C2000 8009AA02
	s_mov_b64 exec, s[100:101]                                 // 00000000CFEC: BEFE0164
	v_add_u32_e32 v2, s70, v2                                  // 00000000CFF0: 68040446
	s_mul_i32 s60, 12, s70                                     // 00000000CFF4: 923C468C
	v_add_u32_e32 v2, s60, v2                                  // 00000000CFF8: 6804043C
	s_mov_b64 exec, s[44:45]                                   // 00000000CFFC: BEFE012C
	buffer_store_dwordx4 v[174:177], v2, s[36:39], 0 idxen     // 00000000D000: E07C2000 8009AE02
	s_mov_b64 exec, s[100:101]                                 // 00000000D008: BEFE0164
	v_add_u32_e32 v2, s70, v2                                  // 00000000D00C: 68040446
	s_mov_b64 exec, s[44:45]                                   // 00000000D010: BEFE012C
	buffer_store_dwordx4 v[178:181], v2, s[36:39], 0 idxen     // 00000000D014: E07C2000 8009B202
	s_mov_b64 exec, s[100:101]                                 // 00000000D01C: BEFE0164
	v_add_u32_e32 v2, s70, v2                                  // 00000000D020: 68040446
	s_mov_b64 exec, s[44:45]                                   // 00000000D024: BEFE012C
	buffer_store_dwordx4 v[182:185], v2, s[36:39], 0 idxen     // 00000000D028: E07C2000 8009B602
	s_mov_b64 exec, s[100:101]                                 // 00000000D030: BEFE0164
	v_add_u32_e32 v2, s70, v2                                  // 00000000D034: 68040446
	s_mov_b64 exec, s[44:45]                                   // 00000000D038: BEFE012C
	buffer_store_dwordx4 v[186:189], v2, s[36:39], 0 idxen     // 00000000D03C: E07C2000 8009BA02
	s_mov_b64 exec, s[100:101]                                 // 00000000D044: BEFE0164
	v_add_u32_e32 v2, s70, v2                                  // 00000000D048: 68040446
	s_mul_i32 s60, 12, s70                                     // 00000000D04C: 923C468C
	v_add_u32_e32 v2, s60, v2                                  // 00000000D050: 6804043C
	s_cmp_ge_i32 2, s72                                        // 00000000D054: BF034882
	s_cbranch_scc1 label_243F                                  // 00000000D058: BF850000

000000000000d05c <label_243F>:
	s_waitcnt vmcnt(0) expcnt(0) lgkmcnt(0)                    // 00000000D05C: BF8C0000
	s_sub_i32 s60, s77, 1                                      // 00000000D060: 81BC814D
	s_sub_i32 s2, s60, s2                                      // 00000000D064: 8182023C
	s_addk_i32 s75, 0x1                                        // 00000000D068: B74B0001
	s_cmp_lt_i32 s75, s76                                      // 00000000D06C: BF044C4B
	s_cbranch_scc1 label_0164                                  // 00000000D070: BF85DD47

000000000000d074 <label_2445>:
	s_waitcnt vmcnt(0) expcnt(0) lgkmcnt(0)                    // 00000000D074: BF8C0000
	s_endpgm                                                   // 00000000D078: BF810000
